;; amdgpu-corpus repo=ROCm/rocFFT kind=compiled arch=gfx1030 opt=O3
	.text
	.amdgcn_target "amdgcn-amd-amdhsa--gfx1030"
	.amdhsa_code_object_version 6
	.protected	fft_rtc_fwd_len2250_factors_10_3_5_3_5_wgs_90_tpt_90_halfLds_dp_ip_CI_unitstride_sbrr_R2C_dirReg ; -- Begin function fft_rtc_fwd_len2250_factors_10_3_5_3_5_wgs_90_tpt_90_halfLds_dp_ip_CI_unitstride_sbrr_R2C_dirReg
	.globl	fft_rtc_fwd_len2250_factors_10_3_5_3_5_wgs_90_tpt_90_halfLds_dp_ip_CI_unitstride_sbrr_R2C_dirReg
	.p2align	8
	.type	fft_rtc_fwd_len2250_factors_10_3_5_3_5_wgs_90_tpt_90_halfLds_dp_ip_CI_unitstride_sbrr_R2C_dirReg,@function
fft_rtc_fwd_len2250_factors_10_3_5_3_5_wgs_90_tpt_90_halfLds_dp_ip_CI_unitstride_sbrr_R2C_dirReg: ; @fft_rtc_fwd_len2250_factors_10_3_5_3_5_wgs_90_tpt_90_halfLds_dp_ip_CI_unitstride_sbrr_R2C_dirReg
; %bb.0:
	s_mov_b64 s[26:27], s[2:3]
	s_mov_b64 s[24:25], s[0:1]
	s_clause 0x2
	s_load_dwordx4 s[8:11], s[4:5], 0x0
	s_load_dwordx2 s[12:13], s[4:5], 0x50
	s_load_dwordx2 s[2:3], s[4:5], 0x18
	v_mul_u32_u24_e32 v1, 0x2d9, v0
	v_mov_b32_e32 v3, 0
	s_add_u32 s24, s24, s7
	s_addc_u32 s25, s25, 0
	v_add_nc_u32_sdwa v5, s6, v1 dst_sel:DWORD dst_unused:UNUSED_PAD src0_sel:DWORD src1_sel:WORD_1
	v_mov_b32_e32 v1, 0
	v_mov_b32_e32 v6, v3
	;; [unrolled: 1-line block ×3, first 2 shown]
	s_waitcnt lgkmcnt(0)
	v_cmp_lt_u64_e64 s0, s[10:11], 2
	s_and_b32 vcc_lo, exec_lo, s0
	s_cbranch_vccnz .LBB0_8
; %bb.1:
	s_load_dwordx2 s[0:1], s[4:5], 0x10
	v_mov_b32_e32 v1, 0
	s_add_u32 s6, s2, 8
	v_mov_b32_e32 v2, 0
	s_addc_u32 s7, s3, 0
	s_mov_b64 s[16:17], 1
	s_waitcnt lgkmcnt(0)
	s_add_u32 s14, s0, 8
	s_addc_u32 s15, s1, 0
.LBB0_2:                                ; =>This Inner Loop Header: Depth=1
	s_load_dwordx2 s[18:19], s[14:15], 0x0
                                        ; implicit-def: $vgpr7_vgpr8
	s_mov_b32 s0, exec_lo
	s_waitcnt lgkmcnt(0)
	v_or_b32_e32 v4, s19, v6
	v_cmpx_ne_u64_e32 0, v[3:4]
	s_xor_b32 s1, exec_lo, s0
	s_cbranch_execz .LBB0_4
; %bb.3:                                ;   in Loop: Header=BB0_2 Depth=1
	v_cvt_f32_u32_e32 v4, s18
	v_cvt_f32_u32_e32 v7, s19
	s_sub_u32 s0, 0, s18
	s_subb_u32 s20, 0, s19
	v_fmac_f32_e32 v4, 0x4f800000, v7
	v_rcp_f32_e32 v4, v4
	v_mul_f32_e32 v4, 0x5f7ffffc, v4
	v_mul_f32_e32 v7, 0x2f800000, v4
	v_trunc_f32_e32 v7, v7
	v_fmac_f32_e32 v4, 0xcf800000, v7
	v_cvt_u32_f32_e32 v7, v7
	v_cvt_u32_f32_e32 v4, v4
	v_mul_lo_u32 v8, s0, v7
	v_mul_hi_u32 v9, s0, v4
	v_mul_lo_u32 v10, s20, v4
	v_add_nc_u32_e32 v8, v9, v8
	v_mul_lo_u32 v9, s0, v4
	v_add_nc_u32_e32 v8, v8, v10
	v_mul_hi_u32 v10, v4, v9
	v_mul_lo_u32 v11, v4, v8
	v_mul_hi_u32 v12, v4, v8
	v_mul_hi_u32 v13, v7, v9
	v_mul_lo_u32 v9, v7, v9
	v_mul_hi_u32 v14, v7, v8
	v_mul_lo_u32 v8, v7, v8
	v_add_co_u32 v10, vcc_lo, v10, v11
	v_add_co_ci_u32_e32 v11, vcc_lo, 0, v12, vcc_lo
	v_add_co_u32 v9, vcc_lo, v10, v9
	v_add_co_ci_u32_e32 v9, vcc_lo, v11, v13, vcc_lo
	v_add_co_ci_u32_e32 v10, vcc_lo, 0, v14, vcc_lo
	v_add_co_u32 v8, vcc_lo, v9, v8
	v_add_co_ci_u32_e32 v9, vcc_lo, 0, v10, vcc_lo
	v_add_co_u32 v4, vcc_lo, v4, v8
	v_add_co_ci_u32_e32 v7, vcc_lo, v7, v9, vcc_lo
	v_mul_hi_u32 v8, s0, v4
	v_mul_lo_u32 v10, s20, v4
	v_mul_lo_u32 v9, s0, v7
	v_add_nc_u32_e32 v8, v8, v9
	v_mul_lo_u32 v9, s0, v4
	v_add_nc_u32_e32 v8, v8, v10
	v_mul_hi_u32 v10, v4, v9
	v_mul_lo_u32 v11, v4, v8
	v_mul_hi_u32 v12, v4, v8
	v_mul_hi_u32 v13, v7, v9
	v_mul_lo_u32 v9, v7, v9
	v_mul_hi_u32 v14, v7, v8
	v_mul_lo_u32 v8, v7, v8
	v_add_co_u32 v10, vcc_lo, v10, v11
	v_add_co_ci_u32_e32 v11, vcc_lo, 0, v12, vcc_lo
	v_add_co_u32 v9, vcc_lo, v10, v9
	v_add_co_ci_u32_e32 v9, vcc_lo, v11, v13, vcc_lo
	v_add_co_ci_u32_e32 v10, vcc_lo, 0, v14, vcc_lo
	v_add_co_u32 v8, vcc_lo, v9, v8
	v_add_co_ci_u32_e32 v9, vcc_lo, 0, v10, vcc_lo
	v_add_co_u32 v4, vcc_lo, v4, v8
	v_add_co_ci_u32_e32 v11, vcc_lo, v7, v9, vcc_lo
	v_mul_hi_u32 v13, v5, v4
	v_mad_u64_u32 v[9:10], null, v6, v4, 0
	v_mad_u64_u32 v[7:8], null, v5, v11, 0
	;; [unrolled: 1-line block ×3, first 2 shown]
	v_add_co_u32 v4, vcc_lo, v13, v7
	v_add_co_ci_u32_e32 v7, vcc_lo, 0, v8, vcc_lo
	v_add_co_u32 v4, vcc_lo, v4, v9
	v_add_co_ci_u32_e32 v4, vcc_lo, v7, v10, vcc_lo
	v_add_co_ci_u32_e32 v7, vcc_lo, 0, v12, vcc_lo
	v_add_co_u32 v4, vcc_lo, v4, v11
	v_add_co_ci_u32_e32 v9, vcc_lo, 0, v7, vcc_lo
	v_mul_lo_u32 v10, s19, v4
	v_mad_u64_u32 v[7:8], null, s18, v4, 0
	v_mul_lo_u32 v11, s18, v9
	v_sub_co_u32 v7, vcc_lo, v5, v7
	v_add3_u32 v8, v8, v11, v10
	v_sub_nc_u32_e32 v10, v6, v8
	v_subrev_co_ci_u32_e64 v10, s0, s19, v10, vcc_lo
	v_add_co_u32 v11, s0, v4, 2
	v_add_co_ci_u32_e64 v12, s0, 0, v9, s0
	v_sub_co_u32 v13, s0, v7, s18
	v_sub_co_ci_u32_e32 v8, vcc_lo, v6, v8, vcc_lo
	v_subrev_co_ci_u32_e64 v10, s0, 0, v10, s0
	v_cmp_le_u32_e32 vcc_lo, s18, v13
	v_cmp_eq_u32_e64 s0, s19, v8
	v_cndmask_b32_e64 v13, 0, -1, vcc_lo
	v_cmp_le_u32_e32 vcc_lo, s19, v10
	v_cndmask_b32_e64 v14, 0, -1, vcc_lo
	v_cmp_le_u32_e32 vcc_lo, s18, v7
	;; [unrolled: 2-line block ×3, first 2 shown]
	v_cndmask_b32_e64 v15, 0, -1, vcc_lo
	v_cmp_eq_u32_e32 vcc_lo, s19, v10
	v_cndmask_b32_e64 v7, v15, v7, s0
	v_cndmask_b32_e32 v10, v14, v13, vcc_lo
	v_add_co_u32 v13, vcc_lo, v4, 1
	v_add_co_ci_u32_e32 v14, vcc_lo, 0, v9, vcc_lo
	v_cmp_ne_u32_e32 vcc_lo, 0, v10
	v_cndmask_b32_e32 v8, v14, v12, vcc_lo
	v_cndmask_b32_e32 v10, v13, v11, vcc_lo
	v_cmp_ne_u32_e32 vcc_lo, 0, v7
	v_cndmask_b32_e32 v8, v9, v8, vcc_lo
	v_cndmask_b32_e32 v7, v4, v10, vcc_lo
.LBB0_4:                                ;   in Loop: Header=BB0_2 Depth=1
	s_andn2_saveexec_b32 s0, s1
	s_cbranch_execz .LBB0_6
; %bb.5:                                ;   in Loop: Header=BB0_2 Depth=1
	v_cvt_f32_u32_e32 v4, s18
	s_sub_i32 s1, 0, s18
	v_rcp_iflag_f32_e32 v4, v4
	v_mul_f32_e32 v4, 0x4f7ffffe, v4
	v_cvt_u32_f32_e32 v4, v4
	v_mul_lo_u32 v7, s1, v4
	v_mul_hi_u32 v7, v4, v7
	v_add_nc_u32_e32 v4, v4, v7
	v_mul_hi_u32 v4, v5, v4
	v_mul_lo_u32 v7, v4, s18
	v_add_nc_u32_e32 v8, 1, v4
	v_sub_nc_u32_e32 v7, v5, v7
	v_subrev_nc_u32_e32 v9, s18, v7
	v_cmp_le_u32_e32 vcc_lo, s18, v7
	v_cndmask_b32_e32 v7, v7, v9, vcc_lo
	v_cndmask_b32_e32 v4, v4, v8, vcc_lo
	v_cmp_le_u32_e32 vcc_lo, s18, v7
	v_add_nc_u32_e32 v8, 1, v4
	v_cndmask_b32_e32 v7, v4, v8, vcc_lo
	v_mov_b32_e32 v8, v3
.LBB0_6:                                ;   in Loop: Header=BB0_2 Depth=1
	s_or_b32 exec_lo, exec_lo, s0
	s_load_dwordx2 s[0:1], s[6:7], 0x0
	v_mul_lo_u32 v4, v8, s18
	v_mul_lo_u32 v11, v7, s19
	v_mad_u64_u32 v[9:10], null, v7, s18, 0
	s_add_u32 s16, s16, 1
	s_addc_u32 s17, s17, 0
	s_add_u32 s6, s6, 8
	s_addc_u32 s7, s7, 0
	;; [unrolled: 2-line block ×3, first 2 shown]
	v_add3_u32 v4, v10, v11, v4
	v_sub_co_u32 v5, vcc_lo, v5, v9
	v_sub_co_ci_u32_e32 v4, vcc_lo, v6, v4, vcc_lo
	s_waitcnt lgkmcnt(0)
	v_mul_lo_u32 v6, s1, v5
	v_mul_lo_u32 v4, s0, v4
	v_mad_u64_u32 v[1:2], null, s0, v5, v[1:2]
	v_cmp_ge_u64_e64 s0, s[16:17], s[10:11]
	s_and_b32 vcc_lo, exec_lo, s0
	v_add3_u32 v2, v6, v2, v4
	s_cbranch_vccnz .LBB0_9
; %bb.7:                                ;   in Loop: Header=BB0_2 Depth=1
	v_mov_b32_e32 v5, v7
	v_mov_b32_e32 v6, v8
	s_branch .LBB0_2
.LBB0_8:
	v_mov_b32_e32 v8, v6
	v_mov_b32_e32 v7, v5
.LBB0_9:
	s_lshl_b64 s[0:1], s[10:11], 3
	v_mul_hi_u32 v3, 0x2d82d83, v0
	s_add_u32 s0, s2, s0
	s_addc_u32 s1, s3, s1
	s_load_dwordx2 s[0:1], s[0:1], 0x0
	s_load_dwordx2 s[2:3], s[4:5], 0x20
	v_mul_u32_u24_e32 v3, 0x5a, v3
	v_sub_nc_u32_e32 v180, v0, v3
	v_add_nc_u32_e32 v184, 0x5a, v180
	v_add_nc_u32_e32 v186, 0xb4, v180
	s_waitcnt lgkmcnt(0)
	v_mul_lo_u32 v4, s0, v8
	v_mul_lo_u32 v5, s1, v7
	v_mad_u64_u32 v[1:2], null, s0, v7, v[1:2]
	v_cmp_gt_u64_e32 vcc_lo, s[2:3], v[7:8]
	v_cmp_le_u64_e64 s0, s[2:3], v[7:8]
	v_add3_u32 v2, v5, v2, v4
	s_and_saveexec_b32 s1, s0
	s_xor_b32 s0, exec_lo, s1
; %bb.10:
	v_add_nc_u32_e32 v184, 0x5a, v180
	v_add_nc_u32_e32 v186, 0xb4, v180
; %bb.11:
	s_or_saveexec_b32 s1, s0
	v_lshlrev_b64 v[0:1], 4, v[1:2]
	v_lshl_add_u32 v195, v180, 4, 0
	buffer_store_dword v0, off, s[24:27], 0 ; 4-byte Folded Spill
	buffer_store_dword v1, off, s[24:27], 0 offset:4 ; 4-byte Folded Spill
	s_xor_b32 exec_lo, exec_lo, s1
	s_cbranch_execz .LBB0_13
; %bb.12:
	s_clause 0x1
	buffer_load_dword v2, off, s[24:27], 0
	buffer_load_dword v3, off, s[24:27], 0 offset:4
	v_mov_b32_e32 v181, 0
	v_lshlrev_b64 v[0:1], 4, v[180:181]
	s_waitcnt vmcnt(1)
	v_add_co_u32 v2, s0, s12, v2
	s_waitcnt vmcnt(0)
	v_add_co_ci_u32_e64 v3, s0, s13, v3, s0
	v_add_co_u32 v40, s0, v2, v0
	v_add_co_ci_u32_e64 v41, s0, v3, v1, s0
	s_clause 0x1
	global_load_dwordx4 v[0:3], v[40:41], off
	global_load_dwordx4 v[4:7], v[40:41], off offset:1440
	v_add_co_u32 v8, s0, 0x800, v40
	v_add_co_ci_u32_e64 v9, s0, 0, v41, s0
	v_add_co_u32 v16, s0, 0x1000, v40
	v_add_co_ci_u32_e64 v17, s0, 0, v41, s0
	;; [unrolled: 2-line block ×16, first 2 shown]
	s_clause 0x16
	global_load_dwordx4 v[8:11], v[8:9], off offset:832
	global_load_dwordx4 v[12:15], v[16:17], off offset:224
	;; [unrolled: 1-line block ×23, first 2 shown]
	s_waitcnt vmcnt(24)
	ds_write_b128 v195, v[0:3]
	s_waitcnt vmcnt(23)
	ds_write_b128 v195, v[4:7] offset:1440
	s_waitcnt vmcnt(22)
	ds_write_b128 v195, v[8:11] offset:2880
	;; [unrolled: 2-line block ×24, first 2 shown]
.LBB0_13:
	s_or_b32 exec_lo, exec_lo, s1
	s_waitcnt lgkmcnt(0)
	s_waitcnt_vscnt null, 0x0
	s_barrier
	buffer_gl0_inv
	ds_read_b128 v[44:47], v195 offset:18000
	ds_read_b128 v[48:51], v195 offset:25200
	;; [unrolled: 1-line block ×4, first 2 shown]
	ds_read_b128 v[72:75], v195
	ds_read_b128 v[4:7], v195 offset:1440
	ds_read_b128 v[68:71], v195 offset:7200
	;; [unrolled: 1-line block ×12, first 2 shown]
	s_mov_b32 s2, 0x134454ff
	s_mov_b32 s3, 0x3fee6f0e
	ds_read_b128 v[56:59], v195 offset:28800
	ds_read_b128 v[36:39], v195 offset:30240
	;; [unrolled: 1-line block ×3, first 2 shown]
	s_mov_b32 s10, 0x4755a5e
	s_mov_b32 s11, 0x3fe2cf23
	;; [unrolled: 1-line block ×3, first 2 shown]
	s_waitcnt lgkmcnt(18)
	v_add_f64 v[40:41], v[44:45], v[48:49]
	v_add_f64 v[96:97], v[46:47], v[50:51]
	s_waitcnt lgkmcnt(16)
	v_add_f64 v[92:93], v[66:67], v[54:55]
	v_add_f64 v[94:95], v[64:65], v[52:53]
	v_add_f64 v[98:99], v[66:67], -v[54:55]
	v_add_f64 v[102:103], v[44:45], -v[48:49]
	;; [unrolled: 1-line block ×5, first 2 shown]
	s_waitcnt lgkmcnt(9)
	v_add_f64 v[108:109], v[76:77], v[60:61]
	v_add_f64 v[118:119], v[78:79], v[62:63]
	v_add_f64 v[124:125], v[52:53], -v[48:49]
	s_mov_b32 s6, s2
	v_add_f64 v[104:105], v[72:73], v[68:69]
	v_add_f64 v[106:107], v[74:75], v[70:71]
	v_add_f64 v[114:115], v[68:69], -v[76:77]
	v_add_f64 v[116:117], v[76:77], -v[68:69]
	s_waitcnt lgkmcnt(2)
	v_add_f64 v[132:133], v[68:69], v[56:57]
	v_add_f64 v[134:135], v[46:47], -v[66:67]
	v_add_f64 v[136:137], v[50:51], -v[54:55]
	;; [unrolled: 1-line block ×4, first 2 shown]
	v_fma_f64 v[100:101], v[40:41], -0.5, v[80:81]
	v_fma_f64 v[96:97], v[96:97], -0.5, v[82:83]
	;; [unrolled: 1-line block ×4, first 2 shown]
	v_add_f64 v[142:143], v[70:71], v[58:59]
	v_add_f64 v[80:81], v[80:81], v[64:65]
	v_add_f64 v[64:65], v[44:45], -v[64:65]
	v_add_f64 v[144:145], v[48:49], -v[52:53]
	v_add_f64 v[82:83], v[82:83], v[66:67]
	v_add_f64 v[66:67], v[66:67], -v[46:47]
	v_add_f64 v[148:149], v[54:55], -v[50:51]
	v_fma_f64 v[108:109], v[108:109], -0.5, v[72:73]
	v_fma_f64 v[118:119], v[118:119], -0.5, v[74:75]
	v_add_f64 v[120:121], v[120:121], v[124:125]
	s_mov_b32 s4, 0x372fe950
	s_mov_b32 s5, 0x3fd3c6ef
	;; [unrolled: 1-line block ×4, first 2 shown]
	v_add_f64 v[112:113], v[78:79], -v[62:63]
	v_add_f64 v[126:127], v[76:77], -v[60:61]
	;; [unrolled: 1-line block ×4, first 2 shown]
	v_fma_f64 v[130:131], v[98:99], s[2:3], v[100:101]
	v_fma_f64 v[124:125], v[122:123], s[6:7], v[96:97]
	;; [unrolled: 1-line block ×6, first 2 shown]
	v_fma_f64 v[72:73], v[132:133], -0.5, v[72:73]
	v_add_f64 v[132:133], v[134:135], v[136:137]
	v_add_f64 v[136:137], v[58:59], -v[62:63]
	v_add_f64 v[76:77], v[104:105], v[76:77]
	v_add_f64 v[104:105], v[106:107], v[78:79]
	;; [unrolled: 1-line block ×3, first 2 shown]
	v_fma_f64 v[74:75], v[142:143], -0.5, v[74:75]
	v_add_f64 v[64:65], v[64:65], v[144:145]
	v_add_f64 v[46:47], v[82:83], v[46:47]
	v_add_f64 v[70:71], v[78:79], -v[70:71]
	v_add_f64 v[66:67], v[66:67], v[148:149]
	v_fma_f64 v[78:79], v[140:141], s[2:3], v[108:109]
	v_fma_f64 v[82:83], v[98:99], s[6:7], v[100:101]
	;; [unrolled: 1-line block ×4, first 2 shown]
	s_mov_b32 s0, 0x9b97f4a8
	v_fma_f64 v[130:131], v[110:111], s[10:11], v[130:131]
	v_fma_f64 v[106:107], v[102:103], s[14:15], v[124:125]
	;; [unrolled: 1-line block ×6, first 2 shown]
	s_mov_b32 s1, 0x3fe9e377
	v_add_f64 v[152:153], v[60:61], -v[56:57]
	v_add_f64 v[122:123], v[62:63], -v[58:59]
	v_add_f64 v[114:115], v[114:115], v[150:151]
	v_fma_f64 v[124:125], v[112:113], s[6:7], v[72:73]
	v_add_f64 v[128:129], v[128:129], v[136:137]
	v_add_f64 v[60:61], v[76:77], v[60:61]
	;; [unrolled: 1-line block ×4, first 2 shown]
	v_fma_f64 v[48:49], v[126:127], s[2:3], v[74:75]
	v_add_f64 v[46:47], v[46:47], v[50:51]
	v_fma_f64 v[50:51], v[112:113], s[2:3], v[72:73]
	v_fma_f64 v[72:73], v[126:127], s[6:7], v[74:75]
	;; [unrolled: 1-line block ×12, first 2 shown]
	v_add_f64 v[116:117], v[116:117], v[152:153]
	v_fma_f64 v[106:107], v[140:141], s[6:7], v[108:109]
	v_fma_f64 v[108:109], v[68:69], s[2:3], v[118:119]
	ds_read_b128 v[84:87], v195 offset:12240
	ds_read_b128 v[88:91], v195 offset:19440
	;; [unrolled: 1-line block ×3, first 2 shown]
	v_add_f64 v[56:57], v[60:61], v[56:57]
	v_add_f64 v[58:59], v[76:77], v[58:59]
	ds_read_b128 v[60:63], v195 offset:26640
	v_fma_f64 v[48:49], v[68:69], s[14:15], v[48:49]
	v_add_f64 v[52:53], v[44:45], v[52:53]
	v_add_f64 v[54:55], v[46:47], v[54:55]
	ds_read_b128 v[44:47], v195 offset:28080
	v_fma_f64 v[76:77], v[68:69], s[10:11], v[72:73]
	v_fma_f64 v[118:119], v[120:121], s[4:5], v[78:79]
	;; [unrolled: 1-line block ×3, first 2 shown]
	v_mul_f64 v[64:65], v[98:99], s[0:1]
	v_mul_f64 v[92:93], v[98:99], s[14:15]
	v_add_f64 v[98:99], v[70:71], v[122:123]
	v_fma_f64 v[70:71], v[140:141], s[10:11], v[124:125]
	v_mul_f64 v[94:95], v[130:131], s[2:3]
	v_mul_f64 v[110:111], v[80:81], s[6:7]
	v_fma_f64 v[122:123], v[128:129], s[4:5], v[96:97]
	v_mul_f64 v[96:97], v[104:105], s[4:5]
	v_fma_f64 v[82:83], v[66:67], s[4:5], v[82:83]
	v_fma_f64 v[50:51], v[140:141], s[14:15], v[50:51]
	v_mul_f64 v[78:79], v[102:103], s[4:5]
	v_fma_f64 v[106:107], v[112:113], s[14:15], v[106:107]
	s_waitcnt lgkmcnt(1)
	v_add_f64 v[134:135], v[88:89], v[60:61]
	v_fma_f64 v[108:109], v[126:127], s[10:11], v[108:109]
	v_add_f64 v[148:149], v[84:85], -v[88:89]
	v_mul_u32_u24_e32 v166, 10, v180
	v_add_f64 v[68:69], v[56:57], v[52:53]
	v_add_f64 v[168:169], v[34:35], -v[2:3]
	ds_read_b128 v[72:75], v195 offset:5040
	v_mul_f64 v[126:127], v[118:119], s[0:1]
	v_lshl_add_u32 v182, v166, 4, 0
	v_fma_f64 v[124:125], v[100:101], s[10:11], v[64:65]
	ds_read_b128 v[64:67], v195 offset:33840
	v_fma_f64 v[100:101], v[100:101], s[0:1], v[92:93]
	v_fma_f64 v[132:133], v[116:117], s[4:5], v[70:71]
	;; [unrolled: 1-line block ×6, first 2 shown]
	v_fma_f64 v[140:141], v[102:103], s[6:7], -v[96:97]
	v_mul_f64 v[130:131], v[82:83], s[0:1]
	v_fma_f64 v[116:117], v[116:117], s[4:5], v[50:51]
	v_fma_f64 v[138:139], v[104:105], s[2:3], -v[78:79]
	v_add_f64 v[166:167], v[8:9], -v[36:37]
	v_fma_f64 v[128:129], v[128:129], s[4:5], v[108:109]
	v_add_f64 v[70:71], v[58:59], v[54:55]
	v_add_f64 v[92:93], v[56:57], -v[52:53]
	v_add_f64 v[94:95], v[58:59], -v[54:55]
	s_waitcnt lgkmcnt(1)
	v_fma_f64 v[134:135], v[134:135], -0.5, v[72:73]
	v_add_f64 v[146:147], v[74:75], v[86:87]
	ds_read_b128 v[56:59], v195 offset:6480
	ds_read_b128 v[48:51], v195 offset:13680
	;; [unrolled: 1-line block ×3, first 2 shown]
	v_fma_f64 v[82:83], v[82:83], s[10:11], -v[126:127]
	s_waitcnt lgkmcnt(3)
	v_add_f64 v[142:143], v[86:87], -v[66:67]
	v_add_f64 v[76:77], v[120:121], v[124:125]
	v_add_f64 v[96:97], v[120:121], -v[124:125]
	v_add_f64 v[120:121], v[90:91], v[62:63]
	v_add_f64 v[124:125], v[86:87], v[66:67]
	;; [unrolled: 1-line block ×3, first 2 shown]
	v_add_f64 v[98:99], v[122:123], -v[100:101]
	v_add_f64 v[100:101], v[132:133], v[80:81]
	v_add_f64 v[102:103], v[112:113], v[110:111]
	v_fma_f64 v[122:123], v[114:115], s[4:5], v[106:107]
	v_add_f64 v[144:145], v[84:85], v[64:65]
	v_add_f64 v[104:105], v[132:133], -v[80:81]
	v_add_f64 v[106:107], v[112:113], -v[110:111]
	v_add_f64 v[110:111], v[136:137], v[140:141]
	v_add_f64 v[132:133], v[72:73], v[84:85]
	v_add_f64 v[114:115], v[136:137], -v[140:141]
	v_add_f64 v[136:137], v[88:89], -v[60:61]
	v_fma_f64 v[126:127], v[118:119], s[14:15], -v[130:131]
	v_add_f64 v[108:109], v[116:117], v[138:139]
	v_add_f64 v[80:81], v[4:5], v[8:9]
	;; [unrolled: 1-line block ×3, first 2 shown]
	v_add_f64 v[112:113], v[116:117], -v[138:139]
	v_add_f64 v[138:139], v[90:91], -v[62:63]
	;; [unrolled: 1-line block ×4, first 2 shown]
	v_fma_f64 v[154:155], v[120:121], -0.5, v[74:75]
	v_fma_f64 v[74:75], v[124:125], -0.5, v[74:75]
	v_fma_f64 v[156:157], v[142:143], s[2:3], v[134:135]
	v_add_f64 v[84:85], v[88:89], -v[84:85]
	v_add_f64 v[158:159], v[62:63], -v[66:67]
	v_add_f64 v[124:125], v[32:33], v[0:1]
	v_add_f64 v[116:117], v[122:123], v[82:83]
	v_fma_f64 v[72:73], v[144:145], -0.5, v[72:73]
	v_add_f64 v[120:121], v[122:123], -v[82:83]
	v_add_f64 v[82:83], v[34:35], v[2:3]
	v_add_f64 v[144:145], v[146:147], v[90:91]
	;; [unrolled: 1-line block ×3, first 2 shown]
	v_add_f64 v[88:89], v[86:87], -v[90:91]
	v_add_f64 v[86:87], v[90:91], -v[86:87]
	;; [unrolled: 1-line block ×3, first 2 shown]
	v_add_f64 v[118:119], v[128:129], v[126:127]
	v_add_f64 v[80:81], v[80:81], v[32:33]
	;; [unrolled: 1-line block ×3, first 2 shown]
	v_add_f64 v[122:123], v[128:129], -v[126:127]
	v_add_f64 v[140:141], v[10:11], -v[38:39]
	s_waitcnt lgkmcnt(0)
	v_add_f64 v[146:147], v[148:149], v[152:153]
	v_fma_f64 v[148:149], v[150:151], s[6:7], v[154:155]
	v_fma_f64 v[160:161], v[136:137], s[2:3], v[74:75]
	;; [unrolled: 1-line block ×3, first 2 shown]
	v_add_f64 v[156:157], v[60:61], -v[64:65]
	s_barrier
	v_fma_f64 v[164:165], v[124:125], -0.5, v[4:5]
	v_add_f64 v[124:125], v[8:9], -v[32:33]
	v_fma_f64 v[162:163], v[138:139], s[6:7], v[72:73]
	v_add_f64 v[128:129], v[36:37], -v[0:1]
	v_fma_f64 v[82:83], v[82:83], -0.5, v[6:7]
	v_add_f64 v[62:63], v[144:145], v[62:63]
	v_add_f64 v[60:61], v[132:133], v[60:61]
	v_add_f64 v[132:133], v[32:33], -v[0:1]
	v_add_f64 v[86:87], v[86:87], v[158:159]
	v_add_f64 v[88:89], v[88:89], v[90:91]
	;; [unrolled: 1-line block ×5, first 2 shown]
	buffer_gl0_inv
	ds_write_b128 v182, v[68:71]
	ds_write_b128 v182, v[76:79] offset:16
	v_add_f64 v[0:1], v[0:1], -v[36:37]
	v_add_f64 v[172:173], v[50:51], -v[42:43]
	v_fma_f64 v[90:91], v[136:137], s[14:15], v[148:149]
	v_fma_f64 v[144:145], v[150:151], s[14:15], v[160:161]
	;; [unrolled: 1-line block ×3, first 2 shown]
	v_add_f64 v[84:85], v[84:85], v[156:157]
	v_add_f64 v[156:157], v[8:9], v[36:37]
	v_add_f64 v[160:161], v[10:11], -v[34:35]
	v_add_f64 v[8:9], v[32:33], -v[8:9]
	v_fma_f64 v[148:149], v[142:143], s[10:11], v[162:163]
	v_add_f64 v[162:163], v[38:39], -v[2:3]
	v_fma_f64 v[170:171], v[166:167], s[6:7], v[82:83]
	v_add_f64 v[62:63], v[62:63], v[66:67]
	v_add_f64 v[60:61], v[60:61], v[64:65]
	;; [unrolled: 1-line block ×4, first 2 shown]
	v_add_f64 v[10:11], v[34:35], -v[10:11]
	v_fma_f64 v[6:7], v[158:159], -0.5, v[6:7]
	v_add_f64 v[68:69], v[80:81], v[36:37]
	v_add_f64 v[70:71], v[126:127], v[38:39]
	v_fma_f64 v[36:37], v[138:139], s[2:3], v[72:73]
	v_fma_f64 v[72:73], v[136:137], s[6:7], v[74:75]
	v_add_f64 v[2:3], v[2:3], -v[38:39]
	v_add_f64 v[32:33], v[50:51], -v[54:55]
	v_fma_f64 v[78:79], v[88:89], s[4:5], v[90:91]
	v_fma_f64 v[144:145], v[86:87], s[4:5], v[144:145]
	v_mul_f64 v[80:81], v[130:131], s[0:1]
	v_mul_f64 v[90:91], v[130:131], s[14:15]
	v_fma_f64 v[4:5], v[156:157], -0.5, v[4:5]
	v_add_f64 v[34:35], v[48:49], -v[52:53]
	v_add_f64 v[76:77], v[124:125], v[128:129]
	v_fma_f64 v[148:149], v[84:85], s[4:5], v[148:149]
	v_add_f64 v[156:157], v[160:161], v[162:163]
	v_fma_f64 v[158:159], v[132:133], s[14:15], v[170:171]
	v_add_f64 v[174:175], v[54:55], -v[46:47]
	v_add_f64 v[0:1], v[8:9], v[0:1]
	v_fma_f64 v[38:39], v[64:65], -0.5, v[56:57]
	v_fma_f64 v[64:65], v[66:67], -0.5, v[58:59]
	v_fma_f64 v[152:153], v[140:141], s[2:3], v[164:165]
	v_fma_f64 v[74:75], v[132:133], s[2:3], v[6:7]
	v_add_f64 v[124:125], v[68:69], v[60:61]
	v_add_f64 v[126:127], v[70:71], v[62:63]
	v_add_f64 v[128:129], v[68:69], -v[60:61]
	v_add_f64 v[130:131], v[70:71], -v[62:63]
	v_fma_f64 v[72:73], v[150:151], s[10:11], v[72:73]
	v_add_f64 v[60:61], v[42:43], -v[46:47]
	v_add_f64 v[62:63], v[40:41], -v[44:45]
	v_mul_f64 v[66:67], v[144:145], s[2:3]
	v_fma_f64 v[160:161], v[78:79], s[10:11], v[80:81]
	v_fma_f64 v[162:163], v[78:79], s[0:1], v[90:91]
	;; [unrolled: 1-line block ×4, first 2 shown]
	v_add_f64 v[90:91], v[12:13], v[16:17]
	v_mul_f64 v[68:69], v[148:149], s[6:7]
	v_fma_f64 v[134:135], v[142:143], s[14:15], v[36:37]
	v_fma_f64 v[154:155], v[156:157], s[4:5], v[158:159]
	v_add_f64 v[142:143], v[14:15], v[18:19]
	v_add_f64 v[150:151], v[48:49], -v[40:41]
	v_add_f64 v[158:159], v[52:53], -v[44:45]
	v_fma_f64 v[170:171], v[32:33], s[6:7], v[38:39]
	v_fma_f64 v[176:177], v[34:35], s[2:3], v[64:65]
	v_add_f64 v[2:3], v[10:11], v[2:3]
	v_add_f64 v[36:37], v[22:23], -v[26:27]
	v_fma_f64 v[64:65], v[34:35], s[6:7], v[64:65]
	v_fma_f64 v[70:71], v[168:169], s[6:7], v[4:5]
	;; [unrolled: 1-line block ×8, first 2 shown]
	v_add_f64 v[38:39], v[20:21], -v[24:25]
	v_add_f64 v[148:149], v[56:57], v[48:49]
	v_fma_f64 v[152:153], v[168:169], s[10:11], v[152:153]
	v_fma_f64 v[74:75], v[166:167], s[14:15], v[74:75]
	;; [unrolled: 1-line block ×5, first 2 shown]
	v_fma_f64 v[80:81], v[90:91], -0.5, v[28:29]
	v_fma_f64 v[84:85], v[84:85], s[4:5], v[134:135]
	v_fma_f64 v[86:87], v[142:143], -0.5, v[30:31]
	v_add_f64 v[90:91], v[150:151], v[158:159]
	v_fma_f64 v[134:135], v[60:61], s[14:15], v[170:171]
	v_add_f64 v[136:137], v[172:173], v[174:175]
	v_fma_f64 v[138:139], v[62:63], s[10:11], v[176:177]
	v_add_f64 v[142:143], v[28:29], v[20:21]
	v_add_f64 v[144:145], v[30:31], v[22:23]
	v_add_f64 v[150:151], v[58:59], v[50:51]
	v_fma_f64 v[158:159], v[140:141], s[6:7], v[164:165]
	v_add_f64 v[164:165], v[20:21], -v[12:13]
	v_add_f64 v[170:171], v[24:25], -v[16:17]
	;; [unrolled: 1-line block ×3, first 2 shown]
	v_fma_f64 v[66:67], v[60:61], s[10:11], v[66:67]
	v_add_f64 v[176:177], v[26:27], -v[18:19]
	v_fma_f64 v[64:65], v[62:63], s[14:15], v[64:65]
	v_add_f64 v[148:149], v[148:149], v[40:41]
	v_fma_f64 v[70:71], v[140:141], s[10:11], v[70:71]
	v_fma_f64 v[4:5], v[140:141], s[14:15], v[4:5]
	;; [unrolled: 1-line block ×5, first 2 shown]
	v_add_f64 v[68:69], v[14:15], -v[18:19]
	v_fma_f64 v[80:81], v[36:37], s[6:7], v[80:81]
	v_fma_f64 v[178:179], v[38:39], s[6:7], v[86:87]
	v_add_f64 v[78:79], v[12:13], -v[16:17]
	v_fma_f64 v[86:87], v[38:39], s[2:3], v[86:87]
	v_fma_f64 v[134:135], v[90:91], s[4:5], v[134:135]
	;; [unrolled: 1-line block ×3, first 2 shown]
	v_add_f64 v[142:143], v[142:143], v[12:13]
	v_add_f64 v[144:145], v[144:145], v[14:15]
	;; [unrolled: 1-line block ×3, first 2 shown]
	v_fma_f64 v[6:7], v[166:167], s[10:11], v[6:7]
	v_mul_f64 v[140:141], v[72:73], s[4:5]
	v_fma_f64 v[158:159], v[168:169], s[14:15], v[158:159]
	v_fma_f64 v[66:67], v[90:91], s[4:5], v[66:67]
	v_mul_f64 v[90:91], v[84:85], s[4:5]
	v_fma_f64 v[82:83], v[132:133], s[10:11], v[82:83]
	v_add_f64 v[164:165], v[164:165], v[170:171]
	v_add_f64 v[170:171], v[174:175], v[176:177]
	v_fma_f64 v[136:137], v[136:137], s[4:5], v[64:65]
	v_mul_f64 v[132:133], v[146:147], s[0:1]
	v_add_f64 v[148:149], v[148:149], v[44:45]
	v_mul_f64 v[166:167], v[88:89], s[0:1]
	v_fma_f64 v[168:169], v[68:69], s[10:11], v[172:173]
	v_fma_f64 v[80:81], v[68:69], s[14:15], v[80:81]
	;; [unrolled: 1-line block ×5, first 2 shown]
	v_mul_f64 v[174:175], v[134:135], s[0:1]
	v_mul_f64 v[176:177], v[138:139], s[0:1]
	v_add_f64 v[142:143], v[142:143], v[16:17]
	v_add_f64 v[144:145], v[144:145], v[18:19]
	;; [unrolled: 1-line block ×3, first 2 shown]
	v_fma_f64 v[189:190], v[0:1], s[4:5], v[70:71]
	v_fma_f64 v[191:192], v[2:3], s[4:5], v[74:75]
	;; [unrolled: 1-line block ×3, first 2 shown]
	v_mul_f64 v[178:179], v[66:67], s[0:1]
	v_mul_f64 v[187:188], v[66:67], s[14:15]
	v_fma_f64 v[2:3], v[2:3], s[4:5], v[6:7]
	v_fma_f64 v[4:5], v[72:73], s[2:3], -v[90:91]
	v_fma_f64 v[6:7], v[84:85], s[6:7], -v[140:141]
	v_fma_f64 v[193:194], v[76:77], s[4:5], v[158:159]
	v_fma_f64 v[196:197], v[156:157], s[4:5], v[82:83]
	v_fma_f64 v[198:199], v[88:89], s[10:11], -v[132:133]
	v_add_f64 v[74:75], v[148:149], v[52:53]
	v_fma_f64 v[70:71], v[164:165], s[4:5], v[168:169]
	v_fma_f64 v[64:65], v[164:165], s[4:5], v[80:81]
	v_fma_f64 v[166:167], v[146:147], s[14:15], -v[166:167]
	v_fma_f64 v[80:81], v[170:171], s[4:5], v[172:173]
	v_fma_f64 v[88:89], v[170:171], s[4:5], v[86:87]
	v_fma_f64 v[66:67], v[138:139], s[10:11], -v[174:175]
	v_fma_f64 v[90:91], v[134:135], s[14:15], -v[176:177]
	v_add_f64 v[72:73], v[142:143], v[24:25]
	v_add_f64 v[82:83], v[144:145], v[26:27]
	;; [unrolled: 1-line block ×5, first 2 shown]
	v_add_f64 v[138:139], v[154:155], -v[162:163]
	v_fma_f64 v[76:77], v[136:137], s[10:11], v[178:179]
	v_fma_f64 v[86:87], v[136:137], s[0:1], v[187:188]
	v_add_f64 v[136:137], v[152:153], -v[160:161]
	v_add_f64 v[140:141], v[189:190], v[8:9]
	v_add_f64 v[142:143], v[191:192], v[10:11]
	v_add_f64 v[144:145], v[189:190], -v[8:9]
	v_add_f64 v[146:147], v[191:192], -v[10:11]
	v_add_f64 v[148:149], v[0:1], v[4:5]
	v_add_f64 v[150:151], v[2:3], v[6:7]
	v_add_f64 v[152:153], v[0:1], -v[4:5]
	v_add_f64 v[154:155], v[2:3], -v[6:7]
	;; [unrolled: 1-line block ×4, first 2 shown]
	v_add_f64 v[156:157], v[193:194], v[198:199]
	v_add_f64 v[8:9], v[64:65], v[66:67]
	;; [unrolled: 1-line block ×3, first 2 shown]
	v_add_f64 v[0:1], v[72:73], -v[74:75]
	v_add_f64 v[158:159], v[196:197], v[166:167]
	v_add_f64 v[2:3], v[82:83], -v[84:85]
	v_mul_i32_i24_e32 v164, 10, v184
	v_cmp_gt_u32_e64 s0, 45, v180
	ds_write_b128 v182, v[100:103] offset:32
	ds_write_b128 v182, v[108:111] offset:48
	;; [unrolled: 1-line block ×4, first 2 shown]
	v_add_f64 v[4:5], v[70:71], -v[76:77]
	v_add_f64 v[6:7], v[80:81], -v[86:87]
	v_lshl_add_u32 v181, v164, 4, 0
	ds_write_b128 v182, v[96:99] offset:96
	ds_write_b128 v182, v[104:107] offset:112
	;; [unrolled: 1-line block ×4, first 2 shown]
	ds_write_b128 v181, v[124:127]
	ds_write_b128 v181, v[132:135] offset:16
	ds_write_b128 v181, v[140:143] offset:32
	;; [unrolled: 1-line block ×9, first 2 shown]
	s_and_saveexec_b32 s1, s0
	s_cbranch_execz .LBB0_15
; %bb.14:
	v_add_f64 v[92:93], v[50:51], v[54:55]
	v_add_f64 v[94:95], v[48:49], v[52:53]
	v_add_f64 v[40:41], v[40:41], -v[48:49]
	v_add_f64 v[44:45], v[44:45], -v[52:53]
	;; [unrolled: 1-line block ×4, first 2 shown]
	v_add_f64 v[52:53], v[20:21], v[24:25]
	v_add_f64 v[14:15], v[14:15], -v[22:23]
	v_add_f64 v[18:19], v[18:19], -v[26:27]
	;; [unrolled: 1-line block ×4, first 2 shown]
	v_fma_f64 v[58:59], v[92:93], -0.5, v[58:59]
	v_fma_f64 v[56:57], v[94:95], -0.5, v[56:57]
	v_add_f64 v[92:93], v[22:23], v[26:27]
	v_add_f64 v[40:41], v[40:41], v[44:45]
	;; [unrolled: 1-line block ×3, first 2 shown]
	v_fma_f64 v[28:29], v[52:53], -0.5, v[28:29]
	v_add_f64 v[14:15], v[14:15], v[18:19]
	v_add_f64 v[12:13], v[12:13], v[16:17]
	v_fma_f64 v[48:49], v[62:63], s[6:7], v[58:59]
	v_fma_f64 v[50:51], v[60:61], s[6:7], v[56:57]
	;; [unrolled: 1-line block ×4, first 2 shown]
	v_fma_f64 v[30:31], v[92:93], -0.5, v[30:31]
	v_fma_f64 v[44:45], v[34:35], s[10:11], v[48:49]
	v_fma_f64 v[46:47], v[32:33], s[10:11], v[50:51]
	;; [unrolled: 1-line block ×16, first 2 shown]
	v_mul_f64 v[20:21], v[24:25], s[4:5]
	v_mul_f64 v[22:23], v[26:27], s[6:7]
	;; [unrolled: 1-line block ×4, first 2 shown]
	v_fma_f64 v[40:41], v[14:15], s[4:5], v[16:17]
	v_fma_f64 v[42:43], v[14:15], s[4:5], v[18:19]
	;; [unrolled: 1-line block ×4, first 2 shown]
	v_add_f64 v[18:19], v[80:81], v[86:87]
	v_add_f64 v[16:17], v[70:71], v[76:77]
	v_add_f64 v[14:15], v[88:89], -v[90:91]
	v_fma_f64 v[32:33], v[32:33], s[6:7], -v[20:21]
	v_fma_f64 v[44:45], v[34:35], s[4:5], v[22:23]
	v_fma_f64 v[28:29], v[26:27], s[4:5], v[36:37]
	v_fma_f64 v[24:25], v[24:25], s[2:3], -v[38:39]
	v_add_f64 v[22:23], v[82:83], v[84:85]
	v_add_f64 v[20:21], v[72:73], v[74:75]
	v_add_f64 v[26:27], v[40:41], -v[32:33]
	v_add_f64 v[38:39], v[42:43], v[44:45]
	v_add_f64 v[36:37], v[12:13], v[28:29]
	;; [unrolled: 1-line block ×4, first 2 shown]
	v_add_f64 v[30:31], v[42:43], -v[44:45]
	v_add_f64 v[28:29], v[12:13], -v[28:29]
	;; [unrolled: 1-line block ×4, first 2 shown]
	v_mul_i32_i24_e32 v40, 10, v186
	v_lshl_add_u32 v40, v40, 4, 0
	ds_write_b128 v40, v[8:11] offset:64
	ds_write_b128 v40, v[0:3] offset:80
	ds_write_b128 v40, v[4:7] offset:96
	ds_write_b128 v40, v[20:23]
	ds_write_b128 v40, v[16:19] offset:16
	ds_write_b128 v40, v[36:39] offset:32
	;; [unrolled: 1-line block ×6, first 2 shown]
.LBB0_15:
	s_or_b32 exec_lo, exec_lo, s1
	v_mad_i32_i24 v12, 0xffffff70, v184, v181
	v_lshl_add_u32 v196, v186, 4, 0
	s_waitcnt lgkmcnt(0)
	s_barrier
	buffer_gl0_inv
	ds_read_b128 v[36:39], v12
	ds_read_b128 v[12:15], v196
	ds_read_b128 v[96:99], v195 offset:13440
	ds_read_b128 v[44:47], v195 offset:14880
	;; [unrolled: 1-line block ×20, first 2 shown]
	ds_read_b128 v[40:43], v195
	ds_read_b128 v[72:75], v195 offset:34080
	v_cmp_gt_u32_e64 s1, 30, v180
	s_and_saveexec_b32 s2, s1
	s_cbranch_execz .LBB0_17
; %bb.16:
	ds_read_b128 v[0:3], v195 offset:23520
	ds_read_b128 v[8:11], v195 offset:11520
	;; [unrolled: 1-line block ×3, first 2 shown]
.LBB0_17:
	s_or_b32 exec_lo, exec_lo, s2
	v_and_b32_e32 v194, 0xff, v180
	v_and_b32_e32 v187, 0xff, v184
	v_mov_b32_e32 v140, 0xcccd
	v_add_nc_u32_e32 v193, 0x10e, v180
	v_add_nc_u32_e32 v192, 0x168, v180
	v_mul_lo_u16 v108, 0xcd, v194
	v_mul_lo_u16 v109, 0xcd, v187
	v_mul_u32_u24_sdwa v110, v186, v140 dst_sel:DWORD dst_unused:UNUSED_PAD src0_sel:WORD_0 src1_sel:DWORD
	v_mov_b32_e32 v164, 5
	v_add_nc_u32_e32 v191, 0x1c2, v180
	v_lshrrev_b16 v200, 11, v108
	v_lshrrev_b16 v201, 11, v109
	v_lshrrev_b32_e32 v202, 19, v110
	v_mul_u32_u24_sdwa v110, v193, v140 dst_sel:DWORD dst_unused:UNUSED_PAD src0_sel:WORD_0 src1_sel:DWORD
	v_add_nc_u32_e32 v190, 0x21c, v180
	v_mul_lo_u16 v108, v200, 10
	v_mul_lo_u16 v109, v201, 10
	v_add_nc_u32_e32 v189, 0x276, v180
	v_add_nc_u32_e32 v188, 0x2d0, v180
	v_lshrrev_b32_e32 v206, 19, v110
	v_sub_nc_u16 v203, v180, v108
	v_sub_nc_u16 v204, v184, v109
	v_mul_u32_u24_sdwa v109, v192, v140 dst_sel:DWORD dst_unused:UNUSED_PAD src0_sel:WORD_0 src1_sel:DWORD
	v_mul_u32_u24_sdwa v133, v191, v140 dst_sel:DWORD dst_unused:UNUSED_PAD src0_sel:WORD_0 src1_sel:DWORD
	;; [unrolled: 1-line block ×3, first 2 shown]
	v_lshlrev_b32_sdwa v108, v164, v203 dst_sel:DWORD dst_unused:UNUSED_PAD src0_sel:DWORD src1_sel:BYTE_0
	v_lshlrev_b32_sdwa v110, v164, v204 dst_sel:DWORD dst_unused:UNUSED_PAD src0_sel:DWORD src1_sel:BYTE_0
	v_lshrrev_b32_e32 v208, 19, v109
	v_mul_u32_u24_sdwa v143, v189, v140 dst_sel:DWORD dst_unused:UNUSED_PAD src0_sel:WORD_0 src1_sel:DWORD
	v_mul_u32_u24_sdwa v149, v188, v140 dst_sel:DWORD dst_unused:UNUSED_PAD src0_sel:WORD_0 src1_sel:DWORD
	s_clause 0x3
	global_load_dwordx4 v[128:131], v108, s[8:9]
	global_load_dwordx4 v[124:127], v108, s[8:9] offset:16
	global_load_dwordx4 v[120:123], v110, s[8:9]
	global_load_dwordx4 v[116:119], v110, s[8:9] offset:16
	v_mul_lo_u16 v111, v202, 10
	v_mul_lo_u16 v141, v208, 10
	v_lshrrev_b32_e32 v209, 19, v133
	v_lshrrev_b32_e32 v210, 19, v134
	;; [unrolled: 1-line block ×4, first 2 shown]
	v_sub_nc_u16 v205, v186, v111
	v_mul_lo_u16 v111, v206, 10
	v_sub_nc_u16 v211, v192, v141
	v_mul_lo_u16 v141, v209, 10
	v_mul_lo_u16 v142, v210, 10
	;; [unrolled: 1-line block ×4, first 2 shown]
	v_lshlrev_b32_sdwa v132, v164, v205 dst_sel:DWORD dst_unused:UNUSED_PAD src0_sel:DWORD src1_sel:WORD_0
	v_sub_nc_u16 v207, v193, v111
	v_sub_nc_u16 v182, v191, v141
	;; [unrolled: 1-line block ×5, first 2 shown]
	s_clause 0x1
	global_load_dwordx4 v[112:115], v132, s[8:9]
	global_load_dwordx4 v[108:111], v132, s[8:9] offset:16
	v_lshlrev_b32_sdwa v132, v164, v207 dst_sel:DWORD dst_unused:UNUSED_PAD src0_sel:DWORD src1_sel:WORD_0
	v_lshlrev_b32_sdwa v148, v164, v211 dst_sel:DWORD dst_unused:UNUSED_PAD src0_sel:DWORD src1_sel:WORD_0
	;; [unrolled: 1-line block ×6, first 2 shown]
	s_clause 0xb
	global_load_dwordx4 v[136:139], v132, s[8:9]
	global_load_dwordx4 v[132:135], v132, s[8:9] offset:16
	global_load_dwordx4 v[144:147], v148, s[8:9]
	global_load_dwordx4 v[140:143], v148, s[8:9] offset:16
	;; [unrolled: 2-line block ×6, first 2 shown]
	v_mov_b32_e32 v214, 0x1e0
	v_mov_b32_e32 v185, 4
	v_mul_u32_u24_e32 v202, 0x1e0, v202
	v_mul_u32_u24_e32 v206, 0x1e0, v206
	;; [unrolled: 1-line block ×3, first 2 shown]
	v_mul_u32_u24_sdwa v200, v200, v214 dst_sel:DWORD dst_unused:UNUSED_PAD src0_sel:WORD_0 src1_sel:DWORD
	v_mul_u32_u24_sdwa v201, v201, v214 dst_sel:DWORD dst_unused:UNUSED_PAD src0_sel:WORD_0 src1_sel:DWORD
	v_lshlrev_b32_sdwa v203, v185, v203 dst_sel:DWORD dst_unused:UNUSED_PAD src0_sel:DWORD src1_sel:BYTE_0
	v_lshlrev_b32_sdwa v204, v185, v204 dst_sel:DWORD dst_unused:UNUSED_PAD src0_sel:DWORD src1_sel:BYTE_0
	v_lshlrev_b32_sdwa v205, v185, v205 dst_sel:DWORD dst_unused:UNUSED_PAD src0_sel:DWORD src1_sel:WORD_0
	v_lshlrev_b32_sdwa v207, v185, v207 dst_sel:DWORD dst_unused:UNUSED_PAD src0_sel:DWORD src1_sel:WORD_0
	v_mul_u32_u24_e32 v209, 0x1e0, v209
	v_add3_u32 v220, 0, v200, v203
	v_add3_u32 v221, 0, v201, v204
	;; [unrolled: 1-line block ×4, first 2 shown]
	v_mul_u32_u24_e32 v210, 0x1e0, v210
	v_mul_u32_u24_e32 v212, 0x1e0, v212
	v_lshlrev_b32_sdwa v211, v185, v211 dst_sel:DWORD dst_unused:UNUSED_PAD src0_sel:DWORD src1_sel:WORD_0
	v_lshlrev_b32_sdwa v182, v185, v182 dst_sel:DWORD dst_unused:UNUSED_PAD src0_sel:DWORD src1_sel:WORD_0
	;; [unrolled: 1-line block ×4, first 2 shown]
	s_mov_b32 s2, 0xe8584caa
	v_add3_u32 v224, 0, v208, v211
	v_add3_u32 v182, 0, v209, v182
	;; [unrolled: 1-line block ×4, first 2 shown]
	s_mov_b32 s3, 0x3febb67a
	s_mov_b32 s5, 0xbfebb67a
	;; [unrolled: 1-line block ×3, first 2 shown]
	v_mul_i32_i24_e32 v197, 0xffffff70, v184
	s_waitcnt vmcnt(0) lgkmcnt(0)
	s_barrier
	buffer_gl0_inv
	v_mul_f64 v[200:201], v[106:107], v[130:131]
	v_mul_f64 v[130:131], v[104:105], v[130:131]
	;; [unrolled: 1-line block ×12, first 2 shown]
	v_fma_f64 v[104:105], v[104:105], v[128:129], -v[200:201]
	v_fma_f64 v[106:107], v[106:107], v[128:129], v[130:131]
	v_fma_f64 v[100:101], v[100:101], v[124:125], -v[202:203]
	v_mul_f64 v[212:213], v[78:79], v[138:139]
	v_mul_f64 v[214:215], v[82:83], v[134:135]
	;; [unrolled: 1-line block ×10, first 2 shown]
	v_fma_f64 v[102:103], v[102:103], v[124:125], v[126:127]
	v_mul_f64 v[124:125], v[62:63], v[162:163]
	v_mul_f64 v[126:127], v[60:61], v[162:163]
	;; [unrolled: 1-line block ×4, first 2 shown]
	v_fma_f64 v[96:97], v[96:97], v[120:121], -v[204:205]
	v_fma_f64 v[98:99], v[98:99], v[120:121], v[122:123]
	v_mul_f64 v[120:121], v[70:71], v[170:171]
	v_mul_f64 v[122:123], v[68:69], v[170:171]
	;; [unrolled: 1-line block ×4, first 2 shown]
	v_fma_f64 v[92:93], v[92:93], v[116:117], -v[206:207]
	v_fma_f64 v[94:95], v[94:95], v[116:117], v[118:119]
	v_mul_f64 v[116:117], v[2:3], v[174:175]
	v_mul_f64 v[118:119], v[0:1], v[174:175]
	;; [unrolled: 1-line block ×6, first 2 shown]
	v_fma_f64 v[200:201], v[44:45], v[112:113], -v[208:209]
	v_fma_f64 v[112:113], v[46:47], v[112:113], v[114:115]
	v_fma_f64 v[114:115], v[48:49], v[108:109], -v[210:211]
	v_fma_f64 v[108:109], v[50:51], v[108:109], v[110:111]
	v_fma_f64 v[76:77], v[76:77], v[136:137], -v[212:213]
	v_fma_f64 v[80:81], v[80:81], v[132:133], -v[214:215]
	;; [unrolled: 1-line block ×3, first 2 shown]
	v_fma_f64 v[54:55], v[54:55], v[144:145], v[146:147]
	v_fma_f64 v[56:57], v[56:57], v[140:141], -v[218:219]
	v_fma_f64 v[58:59], v[58:59], v[140:141], v[142:143]
	v_fma_f64 v[84:85], v[84:85], v[156:157], -v[128:129]
	;; [unrolled: 2-line block ×9, first 2 shown]
	v_fma_f64 v[48:49], v[6:7], v[176:177], v[178:179]
	v_fma_f64 v[78:79], v[78:79], v[136:137], v[138:139]
	;; [unrolled: 1-line block ×3, first 2 shown]
	v_add_f64 v[0:1], v[104:105], v[100:101]
	v_add_f64 v[2:3], v[106:107], v[102:103]
	;; [unrolled: 1-line block ×14, first 2 shown]
	v_add_f64 v[140:141], v[76:77], -v[80:81]
	v_add_f64 v[76:77], v[52:53], v[56:57]
	v_add_f64 v[142:143], v[54:55], v[58:59]
	v_add_f64 v[144:145], v[18:19], v[54:55]
	v_add_f64 v[146:147], v[16:17], v[52:53]
	v_add_f64 v[148:149], v[54:55], -v[58:59]
	v_add_f64 v[150:151], v[52:53], -v[56:57]
	v_add_f64 v[52:53], v[84:85], v[88:89]
	v_add_f64 v[54:55], v[86:87], v[90:91]
	v_add_f64 v[152:153], v[30:31], v[86:87]
	v_add_f64 v[154:155], v[28:29], v[84:85]
	v_add_f64 v[156:157], v[86:87], -v[90:91]
	v_add_f64 v[158:159], v[84:85], -v[88:89]
	v_add_f64 v[84:85], v[60:61], v[64:65]
	v_add_f64 v[86:87], v[62:63], v[66:67]
	v_add_f64 v[160:161], v[22:23], v[62:63]
	v_add_f64 v[162:163], v[20:21], v[60:61]
	v_add_f64 v[164:165], v[62:63], -v[66:67]
	v_add_f64 v[166:167], v[60:61], -v[64:65]
	v_add_f64 v[60:61], v[68:69], v[72:73]
	v_add_f64 v[62:63], v[70:71], v[74:75]
	v_add_f64 v[168:169], v[34:35], v[70:71]
	v_add_f64 v[170:171], v[32:33], v[68:69]
	v_add_f64 v[172:173], v[70:71], -v[74:75]
	v_add_f64 v[174:175], v[68:69], -v[72:73]
	v_add_f64 v[68:69], v[44:45], v[46:47]
	v_add_f64 v[70:71], v[50:51], v[48:49]
	;; [unrolled: 1-line block ×3, first 2 shown]
	v_add_f64 v[106:107], v[106:107], -v[102:103]
	v_add_f64 v[104:105], v[104:105], -v[100:101]
	;; [unrolled: 1-line block ×6, first 2 shown]
	v_fma_f64 v[0:1], v[0:1], -0.5, v[40:41]
	v_fma_f64 v[2:3], v[2:3], -0.5, v[42:43]
	v_add_f64 v[42:43], v[4:5], v[102:103]
	v_add_f64 v[40:41], v[6:7], v[100:101]
	v_fma_f64 v[4:5], v[110:111], -0.5, v[36:37]
	v_fma_f64 v[6:7], v[116:117], -0.5, v[38:39]
	v_add_f64 v[38:39], v[118:119], v[94:95]
	v_add_f64 v[36:37], v[120:121], v[92:93]
	;; [unrolled: 4-line block ×3, first 2 shown]
	v_add_f64 v[112:113], v[112:113], -v[108:109]
	v_fma_f64 v[126:127], v[68:69], -0.5, v[8:9]
	v_fma_f64 v[128:129], v[70:71], -0.5, v[10:11]
	v_add_f64 v[130:131], v[200:201], -v[114:115]
	v_add_f64 v[136:137], v[26:27], v[78:79]
	v_add_f64 v[78:79], v[78:79], -v[82:83]
	v_fma_f64 v[100:101], v[132:133], -0.5, v[24:25]
	v_fma_f64 v[102:103], v[134:135], -0.5, v[26:27]
	v_fma_f64 v[108:109], v[76:77], -0.5, v[16:17]
	v_fma_f64 v[110:111], v[142:143], -0.5, v[18:19]
	v_fma_f64 v[114:115], v[52:53], -0.5, v[28:29]
	v_fma_f64 v[116:117], v[54:55], -0.5, v[30:31]
	v_fma_f64 v[118:119], v[84:85], -0.5, v[20:21]
	v_fma_f64 v[120:121], v[86:87], -0.5, v[22:23]
	v_add_f64 v[18:19], v[144:145], v[58:59]
	v_add_f64 v[16:17], v[146:147], v[56:57]
	;; [unrolled: 1-line block ×4, first 2 shown]
	v_fma_f64 v[122:123], v[60:61], -0.5, v[32:33]
	v_fma_f64 v[124:125], v[62:63], -0.5, v[34:35]
	v_fma_f64 v[52:53], v[106:107], s[2:3], v[0:1]
	v_fma_f64 v[56:57], v[106:107], s[4:5], v[0:1]
	v_fma_f64 v[54:55], v[104:105], s[4:5], v[2:3]
	v_fma_f64 v[58:59], v[104:105], s[2:3], v[2:3]
	v_fma_f64 v[60:61], v[98:99], s[2:3], v[4:5]
	v_fma_f64 v[64:65], v[98:99], s[4:5], v[4:5]
	v_fma_f64 v[62:63], v[96:97], s[4:5], v[6:7]
	v_fma_f64 v[66:67], v[96:97], s[2:3], v[6:7]
	v_fma_f64 v[0:1], v[176:177], s[2:3], v[126:127]
	v_fma_f64 v[4:5], v[176:177], s[4:5], v[126:127]
	v_fma_f64 v[2:3], v[178:179], s[4:5], v[128:129]
	v_fma_f64 v[6:7], v[178:179], s[2:3], v[128:129]
	v_fma_f64 v[68:69], v[112:113], s[2:3], v[92:93]
	v_fma_f64 v[70:71], v[130:131], s[4:5], v[94:95]
	v_add_f64 v[34:35], v[168:169], v[74:75]
	v_add_f64 v[32:33], v[170:171], v[72:73]
	v_fma_f64 v[72:73], v[112:113], s[4:5], v[92:93]
	v_fma_f64 v[74:75], v[130:131], s[2:3], v[94:95]
	v_add_f64 v[26:27], v[136:137], v[82:83]
	v_add_f64 v[24:25], v[138:139], v[80:81]
	v_fma_f64 v[76:77], v[78:79], s[2:3], v[100:101]
	v_fma_f64 v[80:81], v[78:79], s[4:5], v[100:101]
	;; [unrolled: 1-line block ×6, first 2 shown]
	v_add_f64 v[30:31], v[152:153], v[90:91]
	v_add_f64 v[28:29], v[154:155], v[88:89]
	v_fma_f64 v[88:89], v[148:149], s[4:5], v[108:109]
	v_fma_f64 v[90:91], v[150:151], s[2:3], v[110:111]
	;; [unrolled: 1-line block ×14, first 2 shown]
	ds_write_b128 v220, v[40:43]
	ds_write_b128 v220, v[52:55] offset:160
	ds_write_b128 v220, v[56:59] offset:320
	ds_write_b128 v221, v[36:39]
	ds_write_b128 v221, v[60:63] offset:160
	ds_write_b128 v221, v[64:67] offset:320
	;; [unrolled: 3-line block ×8, first 2 shown]
	s_and_saveexec_b32 s2, s1
	s_cbranch_execz .LBB0_19
; %bb.18:
	v_add_f64 v[10:11], v[10:11], v[50:51]
	v_add_f64 v[8:9], v[8:9], v[44:45]
	v_mul_lo_u16 v12, v198, 30
	v_lshlrev_b32_sdwa v13, v185, v199 dst_sel:DWORD dst_unused:UNUSED_PAD src0_sel:DWORD src1_sel:WORD_0
	v_lshlrev_b32_sdwa v12, v185, v12 dst_sel:DWORD dst_unused:UNUSED_PAD src0_sel:DWORD src1_sel:WORD_0
	v_add3_u32 v12, 0, v13, v12
	v_add_f64 v[10:11], v[10:11], v[48:49]
	v_add_f64 v[8:9], v[8:9], v[46:47]
	ds_write_b128 v12, v[0:3] offset:160
	ds_write_b128 v12, v[8:11]
	ds_write_b128 v12, v[4:7] offset:320
.LBB0_19:
	s_or_b32 exec_lo, exec_lo, s2
	v_mul_lo_u16 v8, 0x89, v194
	v_mov_b32_e32 v60, 6
	v_mov_b32_e32 v48, 0x8889
	s_waitcnt lgkmcnt(0)
	s_barrier
	v_lshrrev_b16 v171, 12, v8
	buffer_gl0_inv
	v_mul_u32_u24_sdwa v24, v186, v48 dst_sel:DWORD dst_unused:UNUSED_PAD src0_sel:WORD_0 src1_sel:DWORD
	v_mul_u32_u24_sdwa v40, v193, v48 dst_sel:DWORD dst_unused:UNUSED_PAD src0_sel:WORD_0 src1_sel:DWORD
	;; [unrolled: 1-line block ×3, first 2 shown]
	v_mul_lo_u16 v8, v171, 30
	v_add_nc_u32_e32 v170, v181, v197
	v_lshrrev_b32_e32 v175, 20, v24
	v_lshrrev_b32_e32 v178, 20, v40
	;; [unrolled: 1-line block ×3, first 2 shown]
	v_sub_nc_u16 v172, v180, v8
	v_mul_lo_u16 v8, 0x89, v187
	v_mul_lo_u16 v32, v175, 30
	v_mul_lo_u16 v49, v178, 30
	v_mul_lo_u16 v62, v177, 30
	v_lshlrev_b32_sdwa v20, v60, v172 dst_sel:DWORD dst_unused:UNUSED_PAD src0_sel:DWORD src1_sel:BYTE_0
	v_lshrrev_b16 v173, 12, v8
	v_sub_nc_u16 v176, v186, v32
	v_sub_nc_u16 v179, v193, v49
	;; [unrolled: 1-line block ×3, first 2 shown]
	s_clause 0x1
	global_load_dwordx4 v[8:11], v20, s[8:9] offset:320
	global_load_dwordx4 v[12:15], v20, s[8:9] offset:336
	v_mul_lo_u16 v16, v173, 30
	v_lshlrev_b32_sdwa v52, v60, v176 dst_sel:DWORD dst_unused:UNUSED_PAD src0_sel:DWORD src1_sel:WORD_0
	v_lshlrev_b32_sdwa v61, v60, v179 dst_sel:DWORD dst_unused:UNUSED_PAD src0_sel:DWORD src1_sel:WORD_0
	v_mov_b32_e32 v181, 0x960
	v_lshlrev_b32_sdwa v172, v185, v172 dst_sel:DWORD dst_unused:UNUSED_PAD src0_sel:DWORD src1_sel:BYTE_0
	v_sub_nc_u16 v174, v184, v16
	s_clause 0x1
	global_load_dwordx4 v[16:19], v20, s[8:9] offset:352
	global_load_dwordx4 v[48:51], v52, s[8:9] offset:352
	v_mul_u32_u24_sdwa v171, v171, v181 dst_sel:DWORD dst_unused:UNUSED_PAD src0_sel:WORD_0 src1_sel:DWORD
	v_mul_u32_u24_sdwa v173, v173, v181 dst_sel:DWORD dst_unused:UNUSED_PAD src0_sel:WORD_0 src1_sel:DWORD
	v_lshlrev_b32_sdwa v36, v60, v174 dst_sel:DWORD dst_unused:UNUSED_PAD src0_sel:DWORD src1_sel:BYTE_0
	v_lshlrev_b32_sdwa v60, v60, v187 dst_sel:DWORD dst_unused:UNUSED_PAD src0_sel:DWORD src1_sel:WORD_0
	s_mov_b32 s10, 0x134454ff
	s_clause 0xf
	global_load_dwordx4 v[40:43], v52, s[8:9] offset:320
	global_load_dwordx4 v[44:47], v52, s[8:9] offset:336
	;; [unrolled: 1-line block ×16, first 2 shown]
	ds_read_b128 v[60:63], v195 offset:7200
	ds_read_b128 v[64:67], v195 offset:14400
	ds_read_b128 v[98:101], v195 offset:21600
	ds_read_b128 v[102:105], v195 offset:28800
	ds_read_b128 v[106:109], v195 offset:8640
	ds_read_b128 v[110:113], v195 offset:15840
	ds_read_b128 v[152:155], v195 offset:5760
	ds_read_b128 v[114:117], v195 offset:23040
	ds_read_b128 v[118:121], v195 offset:20160
	ds_read_b128 v[122:125], v195 offset:30240
	ds_read_b128 v[126:129], v195 offset:10080
	ds_read_b128 v[130:133], v195 offset:24480
	ds_read_b128 v[134:137], v195 offset:17280
	ds_read_b128 v[138:141], v195 offset:31680
	v_add3_u32 v181, 0, v171, v172
	v_lshlrev_b32_sdwa v171, v185, v174 dst_sel:DWORD dst_unused:UNUSED_PAD src0_sel:DWORD src1_sel:BYTE_0
	v_lshlrev_b32_sdwa v174, v185, v179 dst_sel:DWORD dst_unused:UNUSED_PAD src0_sel:DWORD src1_sel:WORD_0
	s_mov_b32 s11, 0x3fee6f0e
	s_mov_b32 s15, 0xbfee6f0e
	;; [unrolled: 1-line block ×3, first 2 shown]
	v_add3_u32 v172, 0, v173, v171
	v_lshlrev_b32_sdwa v171, v185, v176 dst_sel:DWORD dst_unused:UNUSED_PAD src0_sel:DWORD src1_sel:WORD_0
	v_mul_u32_u24_e32 v173, 0x960, v175
	v_lshlrev_b32_sdwa v176, v185, v187 dst_sel:DWORD dst_unused:UNUSED_PAD src0_sel:DWORD src1_sel:WORD_0
	s_mov_b32 s4, 0x4755a5e
	s_mov_b32 s5, 0x3fe2cf23
	;; [unrolled: 1-line block ×3, first 2 shown]
	v_add3_u32 v173, 0, v173, v171
	v_mul_u32_u24_e32 v171, 0x960, v178
	s_mov_b32 s6, s4
	s_mov_b32 s2, 0x372fe950
	;; [unrolled: 1-line block ×3, first 2 shown]
	v_add3_u32 v171, 0, v171, v174
	v_mul_u32_u24_e32 v174, 0x960, v177
	v_add3_u32 v182, 0, v174, v176
	s_waitcnt vmcnt(19) lgkmcnt(13)
	v_mul_f64 v[76:77], v[62:63], v[10:11]
	s_waitcnt vmcnt(18) lgkmcnt(12)
	v_mul_f64 v[142:143], v[66:67], v[14:15]
	v_mul_f64 v[14:15], v[64:65], v[14:15]
	;; [unrolled: 1-line block ×3, first 2 shown]
	s_waitcnt vmcnt(17) lgkmcnt(11)
	v_mul_f64 v[146:147], v[100:101], v[18:19]
	v_mul_f64 v[18:19], v[98:99], v[18:19]
	s_waitcnt vmcnt(13) lgkmcnt(9)
	v_mul_f64 v[150:151], v[108:109], v[26:27]
	s_waitcnt vmcnt(12)
	v_mul_f64 v[148:149], v[104:105], v[22:23]
	v_mul_f64 v[22:23], v[102:103], v[22:23]
	v_mul_f64 v[26:27], v[106:107], v[26:27]
	v_fma_f64 v[156:157], v[60:61], v[8:9], -v[76:77]
	s_waitcnt vmcnt(11) lgkmcnt(8)
	v_mul_f64 v[76:77], v[112:113], v[30:31]
	v_fma_f64 v[160:161], v[64:65], v[12:13], -v[142:143]
	v_fma_f64 v[162:163], v[66:67], v[12:13], v[14:15]
	s_waitcnt vmcnt(10) lgkmcnt(6)
	v_mul_f64 v[12:13], v[116:117], v[34:35]
	v_mul_f64 v[14:15], v[114:115], v[34:35]
	;; [unrolled: 1-line block ×3, first 2 shown]
	ds_read_b128 v[142:145], v195 offset:11520
	v_fma_f64 v[164:165], v[98:99], v[16:17], -v[146:147]
	v_fma_f64 v[166:167], v[100:101], v[16:17], v[18:19]
	s_waitcnt vmcnt(9) lgkmcnt(5)
	v_mul_f64 v[16:17], v[124:125], v[38:39]
	v_mul_f64 v[18:19], v[122:123], v[38:39]
	v_fma_f64 v[158:159], v[62:63], v[8:9], v[10:11]
	ds_read_b128 v[8:11], v195 offset:18720
	ds_read_b128 v[98:101], v195 offset:25920
	s_waitcnt lgkmcnt(6)
	v_mul_f64 v[38:39], v[128:129], v[42:43]
	v_mul_f64 v[42:43], v[126:127], v[42:43]
	v_fma_f64 v[60:61], v[106:107], v[24:25], -v[150:151]
	v_fma_f64 v[102:103], v[102:103], v[20:21], -v[148:149]
	v_fma_f64 v[168:169], v[104:105], v[20:21], v[22:23]
	ds_read_b128 v[20:23], v195 offset:33120
	s_waitcnt lgkmcnt(5)
	v_mul_f64 v[104:105], v[136:137], v[46:47]
	v_mul_f64 v[46:47], v[134:135], v[46:47]
	v_fma_f64 v[198:199], v[110:111], v[28:29], -v[76:77]
	v_mul_f64 v[76:77], v[132:133], v[50:51]
	v_mul_f64 v[50:51], v[130:131], v[50:51]
	v_fma_f64 v[202:203], v[114:115], v[32:33], -v[12:13]
	v_fma_f64 v[204:205], v[116:117], v[32:33], v[14:15]
	v_fma_f64 v[62:63], v[108:109], v[24:25], v[26:27]
	ds_read_b128 v[24:27], v195 offset:12960
	v_fma_f64 v[200:201], v[112:113], v[28:29], v[30:31]
	ds_read_b128 v[28:31], v195 offset:27360
	v_fma_f64 v[12:13], v[122:123], v[36:37], -v[16:17]
	v_fma_f64 v[14:15], v[124:125], v[36:37], v[18:19]
	s_waitcnt vmcnt(8) lgkmcnt(6)
	v_mul_f64 v[16:17], v[140:141], v[54:55]
	v_mul_f64 v[18:19], v[138:139], v[54:55]
	s_waitcnt vmcnt(7) lgkmcnt(5)
	v_mul_f64 v[54:55], v[144:145], v[58:59]
	ds_read_b128 v[32:35], v195 offset:34560
	ds_read_b128 v[106:109], v195
	v_mul_f64 v[58:59], v[142:143], v[58:59]
	s_waitcnt vmcnt(6) lgkmcnt(6)
	v_mul_f64 v[110:111], v[10:11], v[70:71]
	v_mul_f64 v[70:71], v[8:9], v[70:71]
	s_waitcnt vmcnt(5) lgkmcnt(5)
	v_mul_f64 v[112:113], v[100:101], v[74:75]
	v_mul_f64 v[74:75], v[98:99], v[74:75]
	v_fma_f64 v[134:135], v[134:135], v[44:45], -v[104:105]
	v_fma_f64 v[206:207], v[136:137], v[44:45], v[46:47]
	s_waitcnt vmcnt(4) lgkmcnt(4)
	v_mul_f64 v[44:45], v[22:23], v[80:81]
	v_mul_f64 v[46:47], v[20:21], v[80:81]
	v_fma_f64 v[208:209], v[130:131], v[48:49], -v[76:77]
	v_fma_f64 v[210:211], v[132:133], v[48:49], v[50:51]
	s_waitcnt vmcnt(3) lgkmcnt(3)
	v_mul_f64 v[80:81], v[26:27], v[84:85]
	v_mul_f64 v[84:85], v[24:25], v[84:85]
	s_waitcnt vmcnt(2)
	v_mul_f64 v[48:49], v[120:121], v[88:89]
	v_mul_f64 v[50:51], v[118:119], v[88:89]
	s_waitcnt vmcnt(1) lgkmcnt(2)
	v_mul_f64 v[88:89], v[30:31], v[92:93]
	v_fma_f64 v[64:65], v[126:127], v[40:41], -v[38:39]
	v_fma_f64 v[66:67], v[128:129], v[40:41], v[42:43]
	v_fma_f64 v[16:17], v[138:139], v[52:53], -v[16:17]
	v_fma_f64 v[18:19], v[140:141], v[52:53], v[18:19]
	s_waitcnt vmcnt(0) lgkmcnt(1)
	v_mul_f64 v[52:53], v[34:35], v[96:97]
	v_mul_f64 v[96:97], v[32:33], v[96:97]
	v_fma_f64 v[130:131], v[142:143], v[56:57], -v[54:55]
	s_waitcnt lgkmcnt(0)
	v_add_f64 v[54:55], v[106:107], v[156:157]
	v_mul_f64 v[92:93], v[28:29], v[92:93]
	v_fma_f64 v[132:133], v[144:145], v[56:57], v[58:59]
	v_add_f64 v[56:57], v[108:109], v[158:159]
	v_fma_f64 v[212:213], v[8:9], v[68:69], -v[110:111]
	v_fma_f64 v[136:137], v[10:11], v[68:69], v[70:71]
	v_fma_f64 v[214:215], v[98:99], v[72:73], -v[112:113]
	v_fma_f64 v[126:127], v[100:101], v[72:73], v[74:75]
	v_fma_f64 v[76:77], v[20:21], v[78:79], -v[44:45]
	v_fma_f64 v[78:79], v[22:23], v[78:79], v[46:47]
	v_add_f64 v[22:23], v[156:157], v[102:103]
	v_fma_f64 v[146:147], v[26:27], v[82:83], v[84:85]
	v_fma_f64 v[144:145], v[24:25], v[82:83], -v[80:81]
	v_fma_f64 v[150:151], v[118:119], v[86:87], -v[48:49]
	;; [unrolled: 1-line block ×3, first 2 shown]
	v_add_f64 v[20:21], v[160:161], v[164:165]
	v_add_f64 v[24:25], v[162:163], v[166:167]
	v_add_f64 v[26:27], v[158:159], v[168:169]
	v_add_f64 v[48:49], v[156:157], -v[160:161]
	v_fma_f64 v[72:73], v[32:33], v[94:95], -v[52:53]
	v_fma_f64 v[74:75], v[34:35], v[94:95], v[96:97]
	v_add_f64 v[32:33], v[198:199], v[202:203]
	v_add_f64 v[28:29], v[54:55], v[160:161]
	v_fma_f64 v[98:99], v[30:31], v[90:91], v[92:93]
	v_add_f64 v[34:35], v[60:61], v[12:13]
	v_add_f64 v[30:31], v[56:57], v[162:163]
	v_add_f64 v[52:53], v[158:159], -v[162:163]
	v_add_f64 v[70:71], v[158:159], -v[168:169]
	;; [unrolled: 1-line block ×5, first 2 shown]
	v_add_f64 v[82:83], v[134:135], v[208:209]
	v_add_f64 v[88:89], v[206:207], v[210:211]
	;; [unrolled: 1-line block ×7, first 2 shown]
	v_fma_f64 v[128:129], v[22:23], -0.5, v[106:107]
	ds_read_b128 v[36:39], v195 offset:4320
	ds_read_b128 v[8:11], v170
	ds_read_b128 v[40:43], v196
	v_add_f64 v[22:23], v[146:147], v[74:75]
	v_fma_f64 v[148:149], v[120:121], v[86:87], v[50:51]
	v_add_f64 v[28:29], v[28:29], v[164:165]
	v_add_f64 v[44:45], v[200:201], v[204:205]
	v_add_f64 v[50:51], v[102:103], -v[164:165]
	v_add_f64 v[54:55], v[168:169], -v[166:167]
	;; [unrolled: 1-line block ×6, first 2 shown]
	v_add_f64 v[86:87], v[64:65], v[16:17]
	v_add_f64 v[30:31], v[30:31], v[166:167]
	v_fma_f64 v[138:139], v[20:21], -0.5, v[106:107]
	v_fma_f64 v[140:141], v[24:25], -0.5, v[108:109]
	v_fma_f64 v[122:123], v[26:27], -0.5, v[108:109]
	v_add_f64 v[24:25], v[60:61], -v[198:199]
	v_add_f64 v[26:27], v[198:199], -v[60:61]
	s_waitcnt lgkmcnt(2)
	v_fma_f64 v[106:107], v[92:93], -0.5, v[36:37]
	s_waitcnt lgkmcnt(1)
	v_add_f64 v[96:97], v[8:9], v[60:61]
	v_fma_f64 v[124:125], v[32:33], -0.5, v[8:9]
	v_fma_f64 v[120:121], v[34:35], -0.5, v[8:9]
	v_add_f64 v[34:35], v[12:13], -v[202:203]
	s_waitcnt lgkmcnt(0)
	v_fma_f64 v[114:115], v[82:83], -0.5, v[40:41]
	v_fma_f64 v[110:111], v[88:89], -0.5, v[42:43]
	v_add_f64 v[8:9], v[28:29], v[102:103]
	v_fma_f64 v[108:109], v[90:91], -0.5, v[42:43]
	v_add_f64 v[218:219], v[42:43], v[66:67]
	v_fma_f64 v[102:103], v[94:95], -0.5, v[36:37]
	v_fma_f64 v[94:95], v[158:159], -0.5, v[38:39]
	;; [unrolled: 1-line block ×3, first 2 shown]
	v_add_f64 v[166:167], v[38:39], v[132:133]
	v_fma_f64 v[82:83], v[22:23], -0.5, v[154:155]
	v_add_f64 v[22:23], v[202:203], -v[12:13]
	v_add_f64 v[38:39], v[62:63], -v[200:201]
	;; [unrolled: 1-line block ×3, first 2 shown]
	v_fma_f64 v[118:119], v[44:45], -0.5, v[10:11]
	v_add_f64 v[216:217], v[40:41], v[64:65]
	v_fma_f64 v[112:113], v[86:87], -0.5, v[40:41]
	v_add_f64 v[220:221], v[36:37], v[130:131]
	v_add_f64 v[40:41], v[200:201], -v[62:63]
	v_add_f64 v[44:45], v[204:205], -v[14:15]
	v_add_f64 v[46:47], v[62:63], v[14:15]
	v_add_f64 v[20:21], v[148:149], v[98:99]
	v_add_f64 v[34:35], v[24:25], v[34:35]
	v_add_f64 v[24:25], v[64:65], -v[134:135]
	v_add_f64 v[100:101], v[10:11], v[62:63]
	v_add_f64 v[96:97], v[96:97], v[198:199]
	v_add_f64 v[32:33], v[56:57], v[156:157]
	;; [unrolled: 4-line block ×3, first 2 shown]
	v_add_f64 v[58:59], v[74:75], -v[98:99]
	v_add_f64 v[142:143], v[98:99], -v[74:75]
	v_add_f64 v[36:37], v[26:27], v[22:23]
	v_add_f64 v[26:27], v[134:135], -v[64:65]
	v_add_f64 v[38:39], v[38:39], v[42:43]
	v_add_f64 v[22:23], v[16:17], -v[208:209]
	v_add_f64 v[42:43], v[208:209], -v[16:17]
	v_add_f64 v[166:167], v[166:167], v[136:137]
	v_add_f64 v[176:177], v[62:63], -v[14:15]
	;; [unrolled: 3-line block ×3, first 2 shown]
	v_fma_f64 v[116:117], v[46:47], -0.5, v[10:11]
	v_add_f64 v[46:47], v[76:77], -v[214:215]
	v_fma_f64 v[86:87], v[20:21], -0.5, v[154:155]
	v_add_f64 v[20:21], v[48:49], v[50:51]
	v_add_f64 v[48:49], v[214:215], -v[76:77]
	v_add_f64 v[50:51], v[78:79], -v[126:127]
	v_add_f64 v[10:11], v[30:31], v[168:169]
	v_add_f64 v[30:31], v[52:53], v[54:55]
	v_add_f64 v[52:53], v[126:127], -v[78:79]
	v_add_f64 v[54:55], v[72:73], -v[104:105]
	v_add_f64 v[158:159], v[96:97], v[202:203]
	v_add_f64 v[96:97], v[100:101], v[200:201]
	v_fma_f64 v[90:91], v[162:163], -0.5, v[152:153]
	v_add_f64 v[168:169], v[152:153], v[144:145]
	v_fma_f64 v[88:89], v[164:165], -0.5, v[152:153]
	v_add_f64 v[22:23], v[24:25], v[22:23]
	v_add_f64 v[24:25], v[26:27], v[42:43]
	v_add_f64 v[26:27], v[18:19], -v[210:211]
	v_add_f64 v[42:43], v[206:207], -v[66:67]
	v_add_f64 v[164:165], v[154:155], v[146:147]
	v_add_f64 v[154:155], v[220:221], v[212:213]
	;; [unrolled: 1-line block ×3, first 2 shown]
	v_add_f64 v[152:153], v[200:201], -v[204:205]
	v_add_f64 v[100:101], v[134:135], -v[208:209]
	;; [unrolled: 1-line block ×3, first 2 shown]
	s_barrier
	buffer_gl0_inv
	ds_write_b128 v181, v[8:11]
	v_add_f64 v[12:13], v[158:159], v[12:13]
	v_add_f64 v[162:163], v[96:97], v[204:205]
	;; [unrolled: 1-line block ×4, first 2 shown]
	v_add_f64 v[134:135], v[206:207], -v[210:211]
	v_fma_f64 v[158:159], v[80:81], s[10:11], v[122:123]
	v_fma_f64 v[122:123], v[80:81], s[14:15], v[122:123]
	v_add_f64 v[26:27], v[44:45], v[26:27]
	v_add_f64 v[44:45], v[210:211], -v[18:19]
	v_add_f64 v[164:165], v[164:165], v[148:149]
	v_add_f64 v[154:155], v[154:155], v[214:215]
	;; [unrolled: 1-line block ×7, first 2 shown]
	v_fma_f64 v[162:163], v[176:177], s[10:11], v[124:125]
	v_fma_f64 v[124:125], v[176:177], s[14:15], v[124:125]
	;; [unrolled: 1-line block ×3, first 2 shown]
	v_add_f64 v[42:43], v[42:43], v[44:45]
	v_add_f64 v[44:45], v[130:131], -v[212:213]
	v_add_f64 v[60:61], v[154:155], v[76:77]
	v_fma_f64 v[154:155], v[68:69], s[6:7], v[158:159]
	v_add_f64 v[16:17], v[156:157], v[16:17]
	v_add_f64 v[160:161], v[96:97], v[210:211]
	v_add_f64 v[96:97], v[212:213], -v[214:215]
	v_fma_f64 v[156:157], v[152:153], s[14:15], v[120:121]
	v_fma_f64 v[120:121], v[152:153], s[10:11], v[120:121]
	v_add_f64 v[64:65], v[64:65], v[72:73]
	v_fma_f64 v[158:159], v[152:153], s[4:5], v[162:163]
	v_add_f64 v[44:45], v[44:45], v[46:47]
	v_add_f64 v[46:47], v[212:213], -v[130:131]
	v_add_f64 v[130:131], v[130:131], -v[76:77]
	v_fma_f64 v[124:125], v[152:153], s[6:7], v[124:125]
	v_fma_f64 v[152:153], v[96:97], s[10:11], v[92:93]
	;; [unrolled: 1-line block ×5, first 2 shown]
	v_add_f64 v[46:47], v[46:47], v[48:49]
	v_add_f64 v[48:49], v[132:133], -v[136:137]
	v_fma_f64 v[152:153], v[130:131], s[6:7], v[152:153]
	v_add_f64 v[48:49], v[48:49], v[50:51]
	v_add_f64 v[50:51], v[136:137], -v[132:133]
	v_add_f64 v[136:137], v[136:137], -v[126:127]
	v_fma_f64 v[126:127], v[70:71], s[10:11], v[138:139]
	v_fma_f64 v[138:139], v[70:71], s[14:15], v[138:139]
	v_add_f64 v[132:133], v[132:133], -v[78:79]
	v_add_f64 v[50:51], v[50:51], v[52:53]
	v_add_f64 v[52:53], v[144:145], -v[150:151]
	v_fma_f64 v[126:127], v[84:85], s[4:5], v[126:127]
	v_add_f64 v[52:53], v[52:53], v[54:55]
	v_add_f64 v[54:55], v[150:151], -v[144:145]
	v_add_f64 v[150:151], v[150:151], -v[104:105]
	v_fma_f64 v[104:105], v[68:69], s[14:15], v[140:141]
	v_fma_f64 v[140:141], v[68:69], s[10:11], v[140:141]
	v_add_f64 v[144:145], v[144:145], -v[72:73]
	v_fma_f64 v[72:73], v[134:135], s[14:15], v[112:113]
	v_fma_f64 v[68:69], v[130:131], s[14:15], v[94:95]
	;; [unrolled: 1-line block ×4, first 2 shown]
	v_add_f64 v[54:55], v[54:55], v[56:57]
	v_add_f64 v[56:57], v[146:147], -v[148:149]
	v_fma_f64 v[104:105], v[80:81], s[6:7], v[104:105]
	v_fma_f64 v[80:81], v[80:81], s[4:5], v[140:141]
	;; [unrolled: 1-line block ×4, first 2 shown]
	v_add_f64 v[56:57], v[56:57], v[58:59]
	v_add_f64 v[58:59], v[148:149], -v[146:147]
	v_add_f64 v[148:149], v[148:149], -v[98:99]
	;; [unrolled: 1-line block ×3, first 2 shown]
	v_fma_f64 v[106:107], v[136:137], s[6:7], v[106:107]
	v_add_f64 v[58:59], v[58:59], v[142:143]
	v_add_f64 v[142:143], v[198:199], -v[202:203]
	v_add_f64 v[197:198], v[66:67], -v[18:19]
	v_add_f64 v[66:67], v[164:165], v[98:99]
	v_fma_f64 v[98:99], v[84:85], s[14:15], v[128:129]
	v_fma_f64 v[128:129], v[84:85], s[10:11], v[128:129]
	v_add_f64 v[18:19], v[160:161], v[18:19]
	v_fma_f64 v[160:161], v[174:175], s[14:15], v[118:119]
	v_fma_f64 v[118:119], v[174:175], s[10:11], v[118:119]
	v_fma_f64 v[84:85], v[84:85], s[6:7], v[138:139]
	v_fma_f64 v[138:139], v[100:101], s[10:11], v[108:109]
	v_fma_f64 v[108:109], v[100:101], s[14:15], v[108:109]
	v_fma_f64 v[162:163], v[146:147], s[10:11], v[90:91]
	v_fma_f64 v[90:91], v[146:147], s[14:15], v[90:91]
	v_fma_f64 v[76:77], v[142:143], s[10:11], v[116:117]
	v_fma_f64 v[78:79], v[142:143], s[14:15], v[116:117]
	v_fma_f64 v[116:117], v[197:198], s[10:11], v[114:115]
	v_fma_f64 v[114:115], v[197:198], s[14:15], v[114:115]
	v_add_f64 v[66:67], v[66:67], v[74:75]
	v_fma_f64 v[74:75], v[134:135], s[10:11], v[112:113]
	v_fma_f64 v[112:113], v[178:179], s[14:15], v[110:111]
	v_fma_f64 v[110:111], v[178:179], s[10:11], v[110:111]
	v_fma_f64 v[98:99], v[70:71], s[4:5], v[98:99]
	v_fma_f64 v[128:129], v[70:71], s[6:7], v[128:129]
	v_fma_f64 v[70:71], v[136:137], s[14:15], v[102:103]
	v_fma_f64 v[102:103], v[136:137], s[10:11], v[102:103]
	v_fma_f64 v[160:161], v[142:143], s[6:7], v[160:161]
	v_fma_f64 v[118:119], v[142:143], s[4:5], v[118:119]
	v_fma_f64 v[142:143], v[148:149], s[14:15], v[88:89]
	v_fma_f64 v[88:89], v[148:149], s[10:11], v[88:89]
	v_fma_f64 v[108:109], v[178:179], s[4:5], v[108:109]
	v_fma_f64 v[162:163], v[148:149], s[4:5], v[162:163]
	v_fma_f64 v[148:149], v[148:149], s[6:7], v[90:91]
	v_fma_f64 v[164:165], v[174:175], s[6:7], v[76:77]
	v_fma_f64 v[76:77], v[144:145], s[14:15], v[86:87]
	v_fma_f64 v[166:167], v[174:175], s[4:5], v[78:79]
	v_fma_f64 v[78:79], v[144:145], s[10:11], v[86:87]
	v_fma_f64 v[86:87], v[150:151], s[10:11], v[82:83]
	v_fma_f64 v[82:83], v[150:151], s[14:15], v[82:83]
	v_fma_f64 v[116:117], v[134:135], s[4:5], v[116:117]
	v_fma_f64 v[114:115], v[134:135], s[6:7], v[114:115]
	v_fma_f64 v[112:113], v[100:101], s[6:7], v[112:113]
	v_fma_f64 v[134:135], v[197:198], s[4:5], v[72:73]
	v_fma_f64 v[100:101], v[100:101], s[4:5], v[110:111]
	v_fma_f64 v[110:111], v[178:179], s[6:7], v[138:139]
	v_fma_f64 v[168:169], v[197:198], s[6:7], v[74:75]
	v_fma_f64 v[138:139], v[136:137], s[4:5], v[140:141]
	v_fma_f64 v[136:137], v[132:133], s[4:5], v[70:71]
	v_fma_f64 v[102:103], v[132:133], s[6:7], v[102:103]
	v_fma_f64 v[132:133], v[96:97], s[6:7], v[68:69]
	v_fma_f64 v[140:141], v[96:97], s[4:5], v[94:95]
	v_fma_f64 v[142:143], v[146:147], s[4:5], v[142:143]
	v_fma_f64 v[146:147], v[146:147], s[6:7], v[88:89]
	v_fma_f64 v[68:69], v[20:21], s[2:3], v[126:127]
	v_fma_f64 v[70:71], v[30:31], s[2:3], v[104:105]
	v_fma_f64 v[74:75], v[30:31], s[2:3], v[80:81]
	v_fma_f64 v[174:175], v[150:151], s[6:7], v[76:77]
	v_fma_f64 v[76:77], v[28:29], s[2:3], v[98:99]
	v_fma_f64 v[150:151], v[150:151], s[4:5], v[78:79]
	v_fma_f64 v[176:177], v[144:145], s[6:7], v[86:87]
	v_fma_f64 v[144:145], v[144:145], s[4:5], v[82:83]
	v_fma_f64 v[78:79], v[32:33], s[2:3], v[154:155]
	v_fma_f64 v[28:29], v[28:29], s[2:3], v[128:129]
	v_fma_f64 v[30:31], v[32:33], s[2:3], v[122:123]
	v_fma_f64 v[72:73], v[20:21], s[2:3], v[84:85]
	v_fma_f64 v[32:33], v[34:35], s[2:3], v[158:159]
	v_fma_f64 v[80:81], v[34:35], s[2:3], v[124:125]
	v_fma_f64 v[34:35], v[38:39], s[2:3], v[160:161]
	v_fma_f64 v[84:85], v[36:37], s[2:3], v[156:157]
	v_fma_f64 v[86:87], v[40:41], s[2:3], v[164:165]
	v_fma_f64 v[36:37], v[36:37], s[2:3], v[120:121]
	v_fma_f64 v[82:83], v[38:39], s[2:3], v[118:119]
	v_fma_f64 v[38:39], v[40:41], s[2:3], v[166:167]
	v_fma_f64 v[20:21], v[22:23], s[2:3], v[116:117]
	v_fma_f64 v[88:89], v[22:23], s[2:3], v[114:115]
	v_fma_f64 v[22:23], v[26:27], s[2:3], v[112:113]
	v_fma_f64 v[92:93], v[24:25], s[2:3], v[134:135]
	v_fma_f64 v[94:95], v[42:43], s[2:3], v[110:111]
	v_fma_f64 v[24:25], v[24:25], s[2:3], v[168:169]
	v_fma_f64 v[90:91], v[26:27], s[2:3], v[100:101]
	v_fma_f64 v[26:27], v[42:43], s[2:3], v[108:109]
	v_fma_f64 v[40:41], v[44:45], s[2:3], v[138:139]
	v_fma_f64 v[42:43], v[48:49], s[2:3], v[132:133]
	v_fma_f64 v[96:97], v[46:47], s[2:3], v[136:137]
	v_fma_f64 v[98:99], v[50:51], s[2:3], v[152:153]
	v_fma_f64 v[100:101], v[46:47], s[2:3], v[102:103]
	v_fma_f64 v[102:103], v[50:51], s[2:3], v[130:131]
	v_fma_f64 v[44:45], v[44:45], s[2:3], v[106:107]
	v_fma_f64 v[46:47], v[48:49], s[2:3], v[140:141]
	v_fma_f64 v[48:49], v[52:53], s[2:3], v[162:163]
	v_fma_f64 v[50:51], v[56:57], s[2:3], v[174:175]
	v_fma_f64 v[8:9], v[52:53], s[2:3], v[148:149]
	v_fma_f64 v[52:53], v[54:55], s[2:3], v[142:143]
	v_fma_f64 v[104:105], v[54:55], s[2:3], v[146:147]
	v_fma_f64 v[54:55], v[58:59], s[2:3], v[176:177]
	v_fma_f64 v[106:107], v[58:59], s[2:3], v[144:145]
	v_fma_f64 v[10:11], v[56:57], s[2:3], v[150:151]
	ds_write_b128 v181, v[68:71] offset:480
	ds_write_b128 v181, v[76:79] offset:960
	ds_write_b128 v181, v[28:31] offset:1440
	ds_write_b128 v181, v[72:75] offset:1920
	ds_write_b128 v172, v[12:15]
	ds_write_b128 v172, v[32:35] offset:480
	ds_write_b128 v172, v[84:87] offset:960
	ds_write_b128 v172, v[36:39] offset:1440
	ds_write_b128 v172, v[80:83] offset:1920
	ds_write_b128 v173, v[16:19]
	ds_write_b128 v173, v[20:23] offset:480
	ds_write_b128 v173, v[92:95] offset:960
	ds_write_b128 v173, v[24:27] offset:1440
	ds_write_b128 v173, v[88:91] offset:1920
	ds_write_b128 v171, v[60:63]
	ds_write_b128 v171, v[40:43] offset:480
	ds_write_b128 v171, v[96:99] offset:960
	ds_write_b128 v171, v[100:103] offset:1440
	ds_write_b128 v171, v[44:47] offset:1920
	ds_write_b128 v182, v[64:67]
	ds_write_b128 v182, v[48:51] offset:480
	ds_write_b128 v182, v[52:55] offset:960
	ds_write_b128 v182, v[104:107] offset:1440
	ds_write_b128 v182, v[8:11] offset:1920
	s_waitcnt lgkmcnt(0)
	s_barrier
	buffer_gl0_inv
	ds_read_b128 v[20:23], v170
	ds_read_b128 v[32:35], v196
	ds_read_b128 v[68:71], v195 offset:13440
	ds_read_b128 v[84:87], v195 offset:14880
	;; [unrolled: 1-line block ×20, first 2 shown]
	ds_read_b128 v[40:43], v195
	ds_read_b128 v[64:67], v195 offset:34080
	s_and_saveexec_b32 s2, s1
	s_cbranch_execz .LBB0_21
; %bb.20:
	ds_read_b128 v[0:3], v195 offset:23520
	ds_read_b128 v[8:11], v195 offset:11520
	;; [unrolled: 1-line block ×3, first 2 shown]
.LBB0_21:
	s_or_b32 exec_lo, exec_lo, s2
	v_lshlrev_b32_e32 v139, 1, v180
	v_subrev_nc_u32_e32 v108, 60, v180
	v_mov_b32_e32 v140, 0
	v_cmp_gt_u32_e64 s2, 60, v180
	v_lshrrev_b16 v116, 1, v193
	v_mov_b32_e32 v141, 0xda75
	v_lshrrev_b16 v127, 1, v192
	v_mov_b32_e32 v111, v140
	v_cndmask_b32_e64 v142, v108, v184, s2
	v_lshlrev_b64 v[108:109], 4, v[139:140]
	v_mul_u32_u24_sdwa v116, v116, v141 dst_sel:DWORD dst_unused:UNUSED_PAD src0_sel:WORD_0 src1_sel:DWORD
	v_add_nc_u32_e32 v139, 60, v139
	v_mov_b32_e32 v152, 5
	v_lshlrev_b32_e32 v110, 1, v142
	v_lshrrev_b16 v154, 1, v189
	v_add_co_u32 v112, s2, s8, v108
	v_add_co_ci_u32_e64 v113, s2, s9, v109, s2
	v_lshlrev_b64 v[108:109], 4, v[110:111]
	v_add_co_u32 v110, s2, 0x8c0, v112
	v_add_co_ci_u32_e64 v111, s2, 0, v113, s2
	v_add_co_u32 v112, s2, 0x800, v112
	v_add_co_ci_u32_e64 v113, s2, 0, v113, s2
	v_add_co_u32 v114, s2, s8, v108
	v_lshrrev_b32_e32 v143, 22, v116
	v_add_co_ci_u32_e64 v115, s2, s9, v109, s2
	v_add_co_u32 v108, s2, 0x8c0, v114
	v_lshlrev_b64 v[124:125], 4, v[139:140]
	v_mul_lo_u16 v126, 0x96, v143
	v_add_co_ci_u32_e64 v109, s2, 0, v115, s2
	v_add_co_u32 v114, s2, 0x800, v114
	v_add_co_ci_u32_e64 v115, s2, 0, v115, s2
	v_sub_nc_u16 v179, v193, v126
	v_mul_u32_u24_sdwa v126, v127, v141 dst_sel:DWORD dst_unused:UNUSED_PAD src0_sel:WORD_0 src1_sel:DWORD
	v_add_co_u32 v128, s2, s8, v124
	v_add_co_ci_u32_e64 v129, s2, s9, v125, s2
	v_lshrrev_b32_e32 v131, 22, v126
	v_add_co_u32 v124, s2, 0x8c0, v128
	v_lshlrev_b32_sdwa v130, v152, v179 dst_sel:DWORD dst_unused:UNUSED_PAD src0_sel:DWORD src1_sel:WORD_0
	v_add_co_ci_u32_e64 v125, s2, 0, v129, s2
	v_add_co_u32 v126, s2, 0x800, v128
	v_mul_lo_u16 v128, 0x96, v131
	v_add_co_ci_u32_e64 v127, s2, 0, v129, s2
	v_add_co_u32 v129, s2, s8, v130
	v_add_co_ci_u32_e64 v130, null, s9, 0, s2
	v_sub_nc_u16 v128, v192, v128
	v_lshrrev_b16 v131, 1, v191
	v_add_co_u32 v144, s2, 0x8c0, v129
	v_add_co_ci_u32_e64 v145, s2, 0, v130, s2
	v_and_b32_e32 v181, 0xffff, v128
	v_add_co_u32 v128, s2, 0x800, v129
	v_mul_u32_u24_sdwa v131, v131, v141 dst_sel:DWORD dst_unused:UNUSED_PAD src0_sel:WORD_0 src1_sel:DWORD
	v_add_co_ci_u32_e64 v129, s2, 0, v130, s2
	s_clause 0x3
	global_load_dwordx4 v[120:123], v[112:113], off offset:192
	global_load_dwordx4 v[116:119], v[110:111], off offset:16
	global_load_dwordx4 v[112:115], v[114:115], off offset:192
	global_load_dwordx4 v[108:111], v[108:109], off offset:16
	v_lshrrev_b32_e32 v146, 22, v131
	s_clause 0x3
	global_load_dwordx4 v[136:139], v[126:127], off offset:192
	global_load_dwordx4 v[132:135], v[124:125], off offset:16
	;; [unrolled: 1-line block ×4, first 2 shown]
	v_lshrrev_b16 v145, 1, v190
	v_lshlrev_b32_e32 v147, 5, v181
	v_mul_lo_u16 v144, 0x96, v146
	v_lshlrev_b32_e32 v142, 4, v142
	v_mul_u32_u24_e32 v143, 0x1c20, v143
	v_mul_u32_u24_sdwa v149, v145, v141 dst_sel:DWORD dst_unused:UNUSED_PAD src0_sel:WORD_0 src1_sel:DWORD
	v_add_co_u32 v146, s2, s8, v147
	v_sub_nc_u16 v148, v191, v144
	v_add_co_ci_u32_e64 v147, null, s9, 0, s2
	v_lshrrev_b32_e32 v183, 22, v149
	v_add_co_u32 v144, s2, 0x800, v146
	v_and_b32_e32 v182, 0xffff, v148
	v_add_co_ci_u32_e64 v145, s2, 0, v147, s2
	v_mul_lo_u16 v153, 0x96, v183
	v_add_co_u32 v148, s2, 0x8c0, v146
	v_lshlrev_b32_e32 v155, 5, v182
	v_add_co_ci_u32_e64 v149, s2, 0, v147, s2
	v_sub_nc_u16 v185, v190, v153
	v_mul_u32_u24_sdwa v153, v154, v141 dst_sel:DWORD dst_unused:UNUSED_PAD src0_sel:WORD_0 src1_sel:DWORD
	v_add_co_u32 v154, s2, s8, v155
	v_add_co_ci_u32_e64 v155, null, s9, 0, s2
	v_lshrrev_b32_e32 v153, 22, v153
	v_lshlrev_b32_sdwa v152, v152, v185 dst_sel:DWORD dst_unused:UNUSED_PAD src0_sel:DWORD src1_sel:WORD_0
	v_add_co_u32 v164, s2, 0x8c0, v154
	v_add_co_ci_u32_e64 v165, s2, 0, v155, s2
	v_mul_lo_u16 v153, 0x96, v153
	v_add_co_u32 v152, s2, s8, v152
	v_add_co_ci_u32_e64 v158, null, s9, 0, s2
	v_sub_nc_u16 v153, v189, v153
	v_add_co_u32 v156, s2, 0x8c0, v152
	v_add_co_ci_u32_e64 v157, s2, 0, v158, s2
	v_and_b32_e32 v187, 0xffff, v153
	v_add_co_u32 v152, s2, 0x800, v152
	v_add_co_ci_u32_e64 v153, s2, 0, v158, s2
	v_lshlrev_b32_e32 v162, 5, v187
	v_add_co_u32 v160, s2, 0x800, v154
	v_add_co_ci_u32_e64 v161, s2, 0, v155, s2
	v_add_co_u32 v166, s2, s8, v162
	v_add_co_ci_u32_e64 v167, null, s9, 0, s2
	s_clause 0x1
	global_load_dwordx4 v[144:147], v[144:145], off offset:192
	global_load_dwordx4 v[148:151], v[148:149], off offset:16
	v_add_co_u32 v168, s2, 0x800, v166
	v_add_co_ci_u32_e64 v169, s2, 0, v167, s2
	v_add_co_u32 v175, s2, 0x8c0, v166
	v_add_co_ci_u32_e64 v176, s2, 0, v167, s2
	s_clause 0x5
	global_load_dwordx4 v[152:155], v[152:153], off offset:192
	global_load_dwordx4 v[156:159], v[156:157], off offset:16
	;; [unrolled: 1-line block ×6, first 2 shown]
	v_mov_b32_e32 v168, 4
	v_cmp_lt_u32_e64 s2, 59, v180
	v_mul_u32_u24_e32 v183, 0x1c20, v183
	s_mov_b32 s4, 0xe8584caa
	s_mov_b32 s5, 0x3febb67a
	v_lshlrev_b32_sdwa v179, v168, v179 dst_sel:DWORD dst_unused:UNUSED_PAD src0_sel:DWORD src1_sel:WORD_0
	v_cndmask_b32_e64 v169, 0, 0x1c20, s2
	v_lshlrev_b32_sdwa v168, v168, v185 dst_sel:DWORD dst_unused:UNUSED_PAD src0_sel:DWORD src1_sel:WORD_0
	s_mov_b32 s3, 0xbfebb67a
	s_mov_b32 s2, s4
	v_add3_u32 v179, 0, v143, v179
	v_add3_u32 v185, 0, v169, v142
	;; [unrolled: 1-line block ×3, first 2 shown]
	s_waitcnt vmcnt(0) lgkmcnt(0)
	s_barrier
	buffer_gl0_inv
	v_lshl_add_u32 v181, v181, 4, 0
	v_lshl_add_u32 v182, v182, 4, 0
	;; [unrolled: 1-line block ×3, first 2 shown]
	v_mul_f64 v[142:143], v[102:103], v[122:123]
	v_mul_f64 v[122:123], v[100:101], v[122:123]
	;; [unrolled: 1-line block ×16, first 2 shown]
	v_fma_f64 v[100:101], v[100:101], v[120:121], -v[142:143]
	v_fma_f64 v[102:103], v[102:103], v[120:121], v[122:123]
	v_fma_f64 v[104:105], v[104:105], v[116:117], -v[168:169]
	v_fma_f64 v[106:107], v[106:107], v[116:117], v[118:119]
	v_fma_f64 v[84:85], v[84:85], v[136:137], -v[197:198]
	v_fma_f64 v[88:89], v[88:89], v[132:133], -v[199:200]
	;; [unrolled: 1-line block ×3, first 2 shown]
	v_fma_f64 v[70:71], v[70:71], v[112:113], v[114:115]
	v_fma_f64 v[72:73], v[72:73], v[108:109], -v[203:204]
	v_fma_f64 v[74:75], v[74:75], v[108:109], v[110:111]
	v_fma_f64 v[86:87], v[86:87], v[136:137], v[138:139]
	;; [unrolled: 1-line block ×3, first 2 shown]
	v_fma_f64 v[76:77], v[76:77], v[128:129], -v[205:206]
	v_fma_f64 v[78:79], v[78:79], v[128:129], v[130:131]
	v_fma_f64 v[80:81], v[80:81], v[124:125], -v[207:208]
	v_fma_f64 v[82:83], v[82:83], v[124:125], v[126:127]
	v_add_f64 v[108:109], v[40:41], v[100:101]
	v_add_f64 v[114:115], v[42:43], v[102:103]
	v_add_f64 v[110:111], v[100:101], v[104:105]
	v_add_f64 v[112:113], v[102:103], -v[106:107]
	v_add_f64 v[102:103], v[102:103], v[106:107]
	v_add_f64 v[100:101], v[100:101], -v[104:105]
	v_add_f64 v[128:129], v[20:21], v[68:69]
	v_add_f64 v[134:135], v[22:23], v[70:71]
	v_add_f64 v[130:131], v[68:69], v[72:73]
	v_add_f64 v[132:133], v[70:71], -v[74:75]
	v_add_f64 v[70:71], v[70:71], v[74:75]
	v_add_f64 v[124:125], v[86:87], -v[90:91]
	;; [unrolled: 6-line block ×3, first 2 shown]
	v_mul_f64 v[116:117], v[46:47], v[146:147]
	v_mul_f64 v[118:119], v[44:45], v[146:147]
	;; [unrolled: 1-line block ×4, first 2 shown]
	v_fma_f64 v[102:103], v[102:103], -0.5, v[42:43]
	v_mul_f64 v[209:210], v[94:95], v[154:155]
	v_mul_f64 v[154:155], v[92:93], v[154:155]
	;; [unrolled: 1-line block ×12, first 2 shown]
	v_fma_f64 v[70:71], v[70:71], -0.5, v[22:23]
	v_fma_f64 v[116:117], v[44:45], v[144:145], -v[116:117]
	v_fma_f64 v[118:119], v[46:47], v[144:145], v[118:119]
	v_fma_f64 v[120:121], v[48:49], v[148:149], -v[120:121]
	v_fma_f64 v[122:123], v[50:51], v[148:149], v[122:123]
	v_add_f64 v[144:145], v[30:31], v[78:79]
	v_add_f64 v[46:47], v[114:115], v[106:107]
	;; [unrolled: 1-line block ×4, first 2 shown]
	v_fma_f64 v[92:93], v[92:93], v[152:153], -v[209:210]
	v_fma_f64 v[94:95], v[94:95], v[152:153], v[154:155]
	v_fma_f64 v[96:97], v[96:97], v[156:157], -v[211:212]
	v_fma_f64 v[98:99], v[98:99], v[156:157], v[158:159]
	;; [unrolled: 2-line block ×6, first 2 shown]
	v_add_f64 v[66:67], v[84:85], v[88:89]
	v_add_f64 v[64:65], v[32:33], v[84:85]
	v_add_f64 v[142:143], v[78:79], -v[82:83]
	v_add_f64 v[78:79], v[78:79], v[82:83]
	v_add_f64 v[106:107], v[116:117], v[120:121]
	;; [unrolled: 1-line block ×3, first 2 shown]
	v_add_f64 v[108:109], v[118:119], -v[122:123]
	v_add_f64 v[84:85], v[84:85], -v[88:89]
	v_add_f64 v[104:105], v[12:13], v[116:117]
	v_add_f64 v[116:117], v[116:117], -v[120:121]
	v_add_f64 v[146:147], v[36:37], v[92:93]
	v_add_f64 v[152:153], v[38:39], v[94:95]
	;; [unrolled: 1-line block ×3, first 2 shown]
	v_add_f64 v[150:151], v[94:95], -v[98:99]
	v_add_f64 v[94:95], v[94:95], v[98:99]
	v_add_f64 v[154:155], v[92:93], -v[96:97]
	v_add_f64 v[156:157], v[48:49], v[52:53]
	v_add_f64 v[162:163], v[50:51], v[54:55]
	v_fma_f64 v[92:93], v[110:111], -0.5, v[40:41]
	v_add_f64 v[173:174], v[26:27], v[58:59]
	v_add_f64 v[168:169], v[56:57], v[60:61]
	v_add_f64 v[171:172], v[58:59], -v[62:63]
	v_add_f64 v[58:59], v[58:59], v[62:63]
	v_add_f64 v[110:111], v[14:15], v[118:119]
	;; [unrolled: 1-line block ×4, first 2 shown]
	v_add_f64 v[175:176], v[56:57], -v[60:61]
	v_fma_f64 v[56:57], v[66:67], -0.5, v[32:33]
	v_fma_f64 v[66:67], v[130:131], -0.5, v[20:21]
	v_add_f64 v[40:41], v[64:65], v[88:89]
	v_fma_f64 v[64:65], v[86:87], -0.5, v[34:35]
	v_add_f64 v[160:161], v[18:19], v[50:51]
	v_add_f64 v[32:33], v[128:129], v[72:73]
	v_add_f64 v[34:35], v[134:135], v[74:75]
	v_fma_f64 v[72:73], v[138:139], -0.5, v[28:29]
	v_fma_f64 v[74:75], v[78:79], -0.5, v[30:31]
	v_add_f64 v[22:23], v[144:145], v[82:83]
	v_fma_f64 v[82:83], v[106:107], -0.5, v[12:13]
	v_fma_f64 v[86:87], v[114:115], -0.5, v[14:15]
	v_add_f64 v[158:159], v[50:51], -v[54:55]
	v_add_f64 v[164:165], v[48:49], -v[52:53]
	v_add_f64 v[28:29], v[146:147], v[96:97]
	v_fma_f64 v[96:97], v[94:95], -0.5, v[38:39]
	v_fma_f64 v[90:91], v[156:157], -0.5, v[16:17]
	;; [unrolled: 1-line block ×4, first 2 shown]
	v_add_f64 v[30:31], v[152:153], v[98:99]
	v_fma_f64 v[36:37], v[112:113], s[4:5], v[92:93]
	v_fma_f64 v[38:39], v[100:101], s[2:3], v[102:103]
	;; [unrolled: 1-line block ×3, first 2 shown]
	v_fma_f64 v[98:99], v[168:169], -0.5, v[24:25]
	v_fma_f64 v[100:101], v[58:59], -0.5, v[26:27]
	v_fma_f64 v[48:49], v[112:113], s[2:3], v[92:93]
	v_add_f64 v[12:13], v[118:119], v[52:53]
	v_fma_f64 v[24:25], v[124:125], s[4:5], v[56:57]
	v_fma_f64 v[52:53], v[124:125], s[2:3], v[56:57]
	;; [unrolled: 1-line block ×4, first 2 shown]
	v_add_f64 v[16:17], v[166:167], v[60:61]
	v_add_f64 v[18:19], v[173:174], v[62:63]
	v_fma_f64 v[60:61], v[132:133], s[2:3], v[66:67]
	v_fma_f64 v[62:63], v[68:69], s[4:5], v[70:71]
	;; [unrolled: 1-line block ×3, first 2 shown]
	v_add_f64 v[14:15], v[160:161], v[54:55]
	v_fma_f64 v[54:55], v[84:85], s[4:5], v[64:65]
	v_add_f64 v[20:21], v[136:137], v[80:81]
	v_fma_f64 v[64:65], v[142:143], s[4:5], v[72:73]
	v_fma_f64 v[66:67], v[76:77], s[2:3], v[74:75]
	;; [unrolled: 1-line block ×4, first 2 shown]
	ds_write_b128 v195, v[44:47]
	v_add_f64 v[44:45], v[104:105], v[120:121]
	v_add_f64 v[46:47], v[110:111], v[122:123]
	v_fma_f64 v[80:81], v[108:109], s[4:5], v[82:83]
	v_fma_f64 v[84:85], v[108:109], s[2:3], v[82:83]
	;; [unrolled: 1-line block ×12, first 2 shown]
	ds_write_b128 v195, v[36:39] offset:2400
	v_fma_f64 v[36:37], v[171:172], s[4:5], v[98:99]
	v_fma_f64 v[38:39], v[175:176], s[2:3], v[100:101]
	;; [unrolled: 1-line block ×4, first 2 shown]
	ds_write_b128 v195, v[48:51] offset:4800
	ds_write_b128 v185, v[32:35]
	ds_write_b128 v185, v[56:59] offset:2400
	ds_write_b128 v185, v[60:63] offset:4800
	;; [unrolled: 1-line block ×5, first 2 shown]
	ds_write_b128 v179, v[20:23]
	ds_write_b128 v179, v[64:67] offset:2400
	ds_write_b128 v179, v[68:71] offset:4800
	;; [unrolled: 1-line block ×8, first 2 shown]
	ds_write_b128 v183, v[28:31]
	ds_write_b128 v183, v[72:75] offset:2400
	ds_write_b128 v183, v[76:79] offset:4800
	ds_write_b128 v187, v[16:19] offset:28800
	ds_write_b128 v187, v[36:39] offset:31200
	ds_write_b128 v187, v[96:99] offset:33600
	s_and_saveexec_b32 s6, s1
	s_cbranch_execz .LBB0_23
; %bb.22:
	v_lshrrev_b16 v12, 1, v188
	v_mul_u32_u24_sdwa v12, v12, v141 dst_sel:DWORD dst_unused:UNUSED_PAD src0_sel:WORD_0 src1_sel:DWORD
	v_lshrrev_b32_e32 v12, 22, v12
	v_mul_lo_u16 v12, 0x96, v12
	v_sub_nc_u16 v12, v188, v12
	v_and_b32_e32 v24, 0xffff, v12
	v_lshlrev_b32_e32 v12, 5, v24
	v_add_co_u32 v14, s1, s8, v12
	v_add_co_ci_u32_e64 v15, null, s9, 0, s1
	v_add_co_u32 v12, s1, 0x800, v14
	v_add_co_ci_u32_e64 v13, s1, 0, v15, s1
	v_add_co_u32 v16, s1, 0x8c0, v14
	v_add_co_ci_u32_e64 v17, s1, 0, v15, s1
	s_clause 0x1
	global_load_dwordx4 v[12:15], v[12:13], off offset:192
	global_load_dwordx4 v[16:19], v[16:17], off offset:16
	s_waitcnt vmcnt(1)
	v_mul_f64 v[20:21], v[0:1], v[14:15]
	s_waitcnt vmcnt(0)
	v_mul_f64 v[22:23], v[4:5], v[18:19]
	v_mul_f64 v[14:15], v[2:3], v[14:15]
	;; [unrolled: 1-line block ×3, first 2 shown]
	v_fma_f64 v[2:3], v[2:3], v[12:13], v[20:21]
	v_fma_f64 v[6:7], v[6:7], v[16:17], v[22:23]
	v_fma_f64 v[0:1], v[0:1], v[12:13], -v[14:15]
	v_fma_f64 v[4:5], v[4:5], v[16:17], -v[18:19]
	v_add_f64 v[18:19], v[10:11], v[2:3]
	v_add_f64 v[12:13], v[2:3], v[6:7]
	;; [unrolled: 1-line block ×3, first 2 shown]
	v_add_f64 v[16:17], v[0:1], -v[4:5]
	v_add_f64 v[0:1], v[8:9], v[0:1]
	v_fma_f64 v[10:11], v[12:13], -0.5, v[10:11]
	v_add_f64 v[12:13], v[2:3], -v[6:7]
	v_fma_f64 v[14:15], v[14:15], -0.5, v[8:9]
	v_add_f64 v[2:3], v[18:19], v[6:7]
	v_add_f64 v[0:1], v[0:1], v[4:5]
	v_fma_f64 v[6:7], v[16:17], s[4:5], v[10:11]
	v_fma_f64 v[10:11], v[16:17], s[2:3], v[10:11]
	;; [unrolled: 1-line block ×4, first 2 shown]
	v_lshl_add_u32 v12, v24, 4, 0
	ds_write_b128 v12, v[0:3] offset:28800
	ds_write_b128 v12, v[8:11] offset:31200
	;; [unrolled: 1-line block ×3, first 2 shown]
.LBB0_23:
	s_or_b32 exec_lo, exec_lo, s6
	v_lshlrev_b32_e32 v139, 2, v180
	s_waitcnt lgkmcnt(0)
	s_barrier
	buffer_gl0_inv
	s_mov_b32 s14, s10
	v_lshlrev_b64 v[0:1], 4, v[139:140]
	v_lshlrev_b32_e32 v139, 2, v184
	s_mov_b32 s4, 0x4755a5e
	s_mov_b32 s5, 0x3fe2cf23
	;; [unrolled: 1-line block ×4, first 2 shown]
	v_add_co_u32 v2, s1, s8, v0
	v_add_co_ci_u32_e64 v3, s1, s9, v1, s1
	v_lshlrev_b64 v[0:1], 4, v[139:140]
	v_add_co_u32 v8, s1, 0x1b80, v2
	v_add_co_ci_u32_e64 v9, s1, 0, v3, s1
	v_add_co_u32 v2, s1, 0x1800, v2
	v_add_co_ci_u32_e64 v3, s1, 0, v3, s1
	v_add_co_u32 v12, s1, s8, v0
	v_lshlrev_b32_e32 v139, 2, v186
	v_add_co_ci_u32_e64 v13, s1, s9, v1, s1
	v_add_co_u32 v10, s1, 0x1800, v12
	v_lshlrev_b64 v[32:33], 4, v[139:140]
	v_add_co_ci_u32_e64 v11, s1, 0, v13, s1
	v_add_co_u32 v20, s1, 0x1b80, v12
	v_add_co_ci_u32_e64 v21, s1, 0, v13, s1
	v_add_co_u32 v36, s1, s8, v32
	v_lshlrev_b32_e32 v139, 2, v193
	v_add_co_ci_u32_e64 v37, s1, s9, v33, s1
	v_add_co_u32 v32, s1, 0x1b80, v36
	v_lshlrev_b64 v[34:35], 4, v[139:140]
	v_add_co_ci_u32_e64 v33, s1, 0, v37, s1
	v_add_co_u32 v36, s1, 0x1800, v36
	v_add_co_ci_u32_e64 v37, s1, 0, v37, s1
	v_add_co_u32 v38, s1, s8, v34
	v_add_co_ci_u32_e64 v39, s1, s9, v35, s1
	s_clause 0x1
	global_load_dwordx4 v[4:7], v[2:3], off offset:896
	global_load_dwordx4 v[0:3], v[8:9], off offset:48
	v_add_co_u32 v34, s1, 0x1800, v38
	v_lshlrev_b32_e32 v139, 2, v192
	s_clause 0x1
	global_load_dwordx4 v[24:27], v[8:9], off offset:32
	global_load_dwordx4 v[28:31], v[8:9], off offset:16
	v_add_co_ci_u32_e64 v35, s1, 0, v39, s1
	s_clause 0x5
	global_load_dwordx4 v[16:19], v[10:11], off offset:896
	global_load_dwordx4 v[8:11], v[20:21], off offset:48
	;; [unrolled: 1-line block ×6, first 2 shown]
	v_add_co_u32 v36, s1, 0x1b80, v38
	v_add_co_ci_u32_e64 v37, s1, 0, v39, s1
	v_lshlrev_b64 v[38:39], 4, v[139:140]
	s_clause 0x5
	global_load_dwordx4 v[72:75], v[32:33], off offset:32
	global_load_dwordx4 v[80:83], v[32:33], off offset:16
	;; [unrolled: 1-line block ×6, first 2 shown]
	s_mov_b32 s3, 0x3fd3c6ef
	v_add_co_u32 v34, s1, s8, v38
	v_add_co_ci_u32_e64 v35, s1, s9, v39, s1
	v_add_co_u32 v32, s1, 0x1800, v34
	v_add_co_ci_u32_e64 v33, s1, 0, v35, s1
	;; [unrolled: 2-line block ×3, first 2 shown]
	s_clause 0x3
	global_load_dwordx4 v[84:87], v[32:33], off offset:896
	global_load_dwordx4 v[96:99], v[34:35], off offset:16
	;; [unrolled: 1-line block ×4, first 2 shown]
	ds_read_b128 v[171:174], v195 offset:14400
	ds_read_b128 v[132:135], v195 offset:15840
	;; [unrolled: 1-line block ×4, first 2 shown]
	ds_read_b128 v[44:47], v170
	ds_read_b128 v[40:43], v196
	ds_read_b128 v[164:167], v195 offset:8640
	ds_read_b128 v[136:139], v195 offset:10080
	;; [unrolled: 1-line block ×5, first 2 shown]
	ds_read_b128 v[56:59], v195
	ds_read_b128 v[36:39], v195 offset:4320
	ds_read_b128 v[152:155], v195 offset:17280
	;; [unrolled: 1-line block ×13, first 2 shown]
	s_waitcnt vmcnt(0) lgkmcnt(0)
	s_barrier
	buffer_gl0_inv
	v_mul_f64 v[168:169], v[177:178], v[6:7]
	v_mul_f64 v[6:7], v[175:176], v[6:7]
	;; [unrolled: 1-line block ×29, first 2 shown]
	v_fma_f64 v[168:169], v[175:176], v[4:5], -v[168:169]
	v_fma_f64 v[4:5], v[177:178], v[4:5], v[6:7]
	v_mul_f64 v[6:7], v[144:145], v[70:71]
	v_mul_f64 v[70:71], v[150:151], v[62:63]
	v_mul_f64 v[62:63], v[148:149], v[62:63]
	v_mul_f64 v[175:176], v[102:103], v[86:87]
	v_fma_f64 v[171:172], v[171:172], v[28:29], -v[201:202]
	v_fma_f64 v[28:29], v[173:174], v[28:29], v[30:31]
	v_mul_f64 v[30:31], v[100:101], v[86:87]
	v_mul_f64 v[86:87], v[106:107], v[98:99]
	;; [unrolled: 1-line block ×4, first 2 shown]
	v_fma_f64 v[177:178], v[197:198], v[24:25], -v[203:204]
	v_fma_f64 v[24:25], v[199:200], v[24:25], v[26:27]
	v_mul_f64 v[26:27], v[108:109], v[94:95]
	v_fma_f64 v[156:157], v[156:157], v[0:1], -v[205:206]
	v_mul_f64 v[94:95], v[114:115], v[90:91]
	v_mul_f64 v[90:91], v[112:113], v[90:91]
	v_fma_f64 v[2:3], v[158:159], v[0:1], v[2:3]
	v_fma_f64 v[0:1], v[164:165], v[16:17], -v[207:208]
	v_fma_f64 v[16:17], v[166:167], v[16:17], v[18:19]
	v_fma_f64 v[18:19], v[132:133], v[20:21], -v[209:210]
	;; [unrolled: 2-line block ×15, first 2 shown]
	v_fma_f64 v[26:27], v[110:111], v[92:93], v[26:27]
	v_add_f64 v[106:107], v[171:172], -v[168:169]
	v_add_f64 v[108:109], v[177:178], -v[156:157]
	v_add_f64 v[110:111], v[58:59], v[4:5]
	v_fma_f64 v[92:93], v[112:113], v[88:89], -v[94:95]
	v_fma_f64 v[88:89], v[114:115], v[88:89], v[90:91]
	v_add_f64 v[94:95], v[171:172], v[177:178]
	v_add_f64 v[96:97], v[4:5], -v[2:3]
	v_add_f64 v[104:105], v[168:169], v[156:157]
	v_add_f64 v[112:113], v[28:29], v[24:25]
	v_add_f64 v[118:119], v[4:5], -v[28:29]
	v_add_f64 v[122:123], v[4:5], v[2:3]
	v_add_f64 v[4:5], v[28:29], -v[4:5]
	v_add_f64 v[124:125], v[24:25], -v[2:3]
	v_add_f64 v[126:127], v[44:45], v[0:1]
	v_add_f64 v[134:135], v[0:1], -v[18:19]
	;; [unrolled: 3-line block ×3, first 2 shown]
	v_add_f64 v[142:143], v[22:23], -v[14:15]
	v_add_f64 v[128:129], v[18:19], v[22:23]
	v_add_f64 v[138:139], v[0:1], v[14:15]
	v_add_f64 v[144:145], v[46:47], v[16:17]
	v_add_f64 v[146:147], v[20:21], v[12:13]
	v_add_f64 v[148:149], v[0:1], -v[14:15]
	v_add_f64 v[0:1], v[16:17], -v[20:21]
	;; [unrolled: 1-line block ×3, first 2 shown]
	v_add_f64 v[154:155], v[16:17], v[8:9]
	v_add_f64 v[100:101], v[168:169], -v[171:172]
	v_add_f64 v[102:103], v[156:157], -v[177:178]
	;; [unrolled: 1-line block ×5, first 2 shown]
	v_add_f64 v[160:161], v[40:41], v[10:11]
	v_add_f64 v[162:163], v[54:55], v[82:83]
	;; [unrolled: 1-line block ×4, first 2 shown]
	v_add_f64 v[114:115], v[168:169], -v[156:157]
	v_add_f64 v[168:169], v[10:11], -v[54:55]
	v_add_f64 v[175:176], v[10:11], v[74:75]
	v_add_f64 v[197:198], v[54:55], -v[10:11]
	v_add_f64 v[205:206], v[10:11], -v[74:75]
	;; [unrolled: 1-line block ×4, first 2 shown]
	v_add_f64 v[211:212], v[52:53], v[48:49]
	v_add_f64 v[164:165], v[52:53], -v[48:49]
	v_add_f64 v[173:174], v[74:75], -v[82:83]
	;; [unrolled: 1-line block ×4, first 2 shown]
	v_add_f64 v[215:216], v[36:37], v[50:51]
	v_add_f64 v[217:218], v[66:67], v[78:79]
	;; [unrolled: 1-line block ×5, first 2 shown]
	v_add_f64 v[98:99], v[28:29], -v[24:25]
	v_add_f64 v[120:121], v[2:3], -v[24:25]
	;; [unrolled: 1-line block ×3, first 2 shown]
	v_add_f64 v[233:234], v[38:39], v[64:65]
	v_add_f64 v[239:240], v[64:65], -v[76:77]
	v_add_f64 v[64:65], v[76:77], -v[64:65]
	v_add_f64 v[245:246], v[6:7], -v[60:61]
	v_add_f64 v[247:248], v[32:33], v[62:63]
	v_add_f64 v[249:250], v[70:71], v[86:87]
	;; [unrolled: 1-line block ×6, first 2 shown]
	v_add_f64 v[150:151], v[18:19], -v[22:23]
	v_fma_f64 v[94:95], v[94:95], -0.5, v[56:57]
	v_fma_f64 v[56:57], v[104:105], -0.5, v[56:57]
	;; [unrolled: 1-line block ×4, first 2 shown]
	v_add_f64 v[122:123], v[62:63], v[92:93]
	v_add_f64 v[124:125], v[4:5], v[124:125]
	v_add_f64 v[4:5], v[30:31], -v[84:85]
	v_add_f64 v[18:19], v[126:127], v[18:19]
	v_add_f64 v[126:127], v[88:89], -v[26:27]
	v_add_f64 v[134:135], v[134:135], v[136:137]
	v_add_f64 v[136:137], v[30:31], v[88:89]
	v_add_f64 v[251:252], v[30:31], -v[88:89]
	v_add_f64 v[90:91], v[90:91], v[171:172]
	v_add_f64 v[30:31], v[84:85], -v[30:31]
	;; [unrolled: 2-line block ×3, first 2 shown]
	v_add_f64 v[116:117], v[171:172], -v[177:178]
	v_add_f64 v[132:133], v[20:21], -v[12:13]
	v_fma_f64 v[128:129], v[128:129], -0.5, v[44:45]
	v_fma_f64 v[44:45], v[138:139], -0.5, v[44:45]
	v_add_f64 v[20:21], v[144:145], v[20:21]
	v_fma_f64 v[138:139], v[146:147], -0.5, v[46:47]
	v_add_f64 v[144:145], v[0:1], v[152:153]
	v_fma_f64 v[0:1], v[154:155], -0.5, v[46:47]
	v_add_f64 v[171:172], v[70:71], -v[62:63]
	v_add_f64 v[100:101], v[100:101], v[102:103]
	v_add_f64 v[102:103], v[86:87], -v[92:93]
	v_add_f64 v[166:167], v[80:81], -v[72:73]
	;; [unrolled: 1-line block ×3, first 2 shown]
	v_add_f64 v[46:47], v[16:17], v[158:159]
	v_add_f64 v[16:17], v[160:161], v[54:55]
	v_fma_f64 v[54:55], v[162:163], -0.5, v[40:41]
	v_add_f64 v[80:81], v[201:202], v[80:81]
	v_fma_f64 v[154:155], v[203:204], -0.5, v[42:43]
	v_add_f64 v[181:182], v[62:63], -v[70:71]
	v_add_f64 v[112:113], v[92:93], -v[86:87]
	v_fma_f64 v[40:41], v[175:176], -0.5, v[40:41]
	v_add_f64 v[158:159], v[10:11], v[209:210]
	v_fma_f64 v[10:11], v[211:212], -0.5, v[42:43]
	v_add_f64 v[199:200], v[82:83], -v[74:75]
	v_add_f64 v[223:224], v[50:51], -v[66:67]
	;; [unrolled: 1-line block ×4, first 2 shown]
	v_add_f64 v[146:147], v[168:169], v[173:174]
	v_add_f64 v[160:161], v[52:53], v[213:214]
	v_add_f64 v[42:43], v[215:216], v[66:67]
	v_fma_f64 v[52:53], v[217:218], -0.5, v[36:37]
	v_fma_f64 v[168:169], v[235:236], -0.5, v[38:39]
	v_add_f64 v[221:222], v[76:77], -v[6:7]
	v_add_f64 v[237:238], v[66:67], -v[78:79]
	v_fma_f64 v[36:37], v[227:228], -0.5, v[36:37]
	v_fma_f64 v[38:39], v[243:244], -0.5, v[38:39]
	v_add_f64 v[253:254], v[84:85], -v[26:27]
	v_add_f64 v[62:63], v[62:63], -v[92:93]
	v_add_f64 v[118:119], v[118:119], v[120:121]
	v_add_f64 v[120:121], v[70:71], -v[86:87]
	v_add_f64 v[175:176], v[64:65], v[245:246]
	v_add_f64 v[64:65], v[247:248], v[70:71]
	v_fma_f64 v[70:71], v[249:250], -0.5, v[32:33]
	v_add_f64 v[84:85], v[108:109], v[84:85]
	v_fma_f64 v[108:109], v[110:111], -0.5, v[34:35]
	v_fma_f64 v[32:33], v[122:123], -0.5, v[32:33]
	v_add_f64 v[110:111], v[4:5], v[126:127]
	v_fma_f64 v[4:5], v[136:137], -0.5, v[34:35]
	v_add_f64 v[122:123], v[30:31], v[142:143]
	v_add_f64 v[30:31], v[90:91], v[177:178]
	v_fma_f64 v[34:35], v[96:97], s[10:11], v[94:95]
	v_fma_f64 v[90:91], v[96:97], s[14:15], v[94:95]
	;; [unrolled: 1-line block ×3, first 2 shown]
	v_add_f64 v[24:25], v[28:29], v[24:25]
	v_fma_f64 v[28:29], v[114:115], s[14:15], v[104:105]
	v_fma_f64 v[126:127], v[116:117], s[10:11], v[58:59]
	v_fma_f64 v[56:57], v[98:99], s[10:11], v[56:57]
	v_fma_f64 v[58:59], v[116:117], s[14:15], v[58:59]
	v_fma_f64 v[104:105], v[114:115], s[10:11], v[104:105]
	v_add_f64 v[18:19], v[18:19], v[22:23]
	v_fma_f64 v[22:23], v[130:131], s[10:11], v[128:129]
	v_add_f64 v[12:13], v[20:21], v[12:13]
	v_fma_f64 v[20:21], v[148:149], s[14:15], v[138:139]
	v_fma_f64 v[136:137], v[132:133], s[14:15], v[44:45]
	;; [unrolled: 1-line block ×4, first 2 shown]
	v_add_f64 v[102:103], v[171:172], v[102:103]
	v_fma_f64 v[128:129], v[130:131], s[14:15], v[128:129]
	v_fma_f64 v[171:172], v[150:151], s[14:15], v[0:1]
	;; [unrolled: 1-line block ×3, first 2 shown]
	v_add_f64 v[76:77], v[233:234], v[76:77]
	v_add_f64 v[16:17], v[16:17], v[82:83]
	v_fma_f64 v[82:83], v[164:165], s[10:11], v[54:55]
	v_add_f64 v[72:73], v[80:81], v[72:73]
	v_fma_f64 v[80:81], v[205:206], s[14:15], v[154:155]
	;; [unrolled: 2-line block ×3, first 2 shown]
	v_fma_f64 v[181:182], v[207:208], s[10:11], v[10:11]
	v_add_f64 v[152:153], v[197:198], v[199:200]
	v_fma_f64 v[40:41], v[166:167], s[10:11], v[40:41]
	v_fma_f64 v[197:198], v[207:208], s[14:15], v[10:11]
	;; [unrolled: 1-line block ×4, first 2 shown]
	v_add_f64 v[225:226], v[68:69], -v[78:79]
	v_add_f64 v[231:232], v[78:79], -v[68:69]
	;; [unrolled: 1-line block ×3, first 2 shown]
	v_add_f64 v[42:43], v[42:43], v[78:79]
	v_fma_f64 v[78:79], v[219:220], s[10:11], v[52:53]
	v_fma_f64 v[52:53], v[219:220], s[14:15], v[52:53]
	;; [unrolled: 1-line block ×8, first 2 shown]
	v_add_f64 v[64:65], v[64:65], v[86:87]
	v_fma_f64 v[86:87], v[251:252], s[10:11], v[70:71]
	v_add_f64 v[26:27], v[84:85], v[26:27]
	v_fma_f64 v[84:85], v[62:63], s[14:15], v[108:109]
	v_fma_f64 v[209:210], v[253:254], s[14:15], v[32:33]
	;; [unrolled: 1-line block ×7, first 2 shown]
	v_add_f64 v[0:1], v[30:31], v[156:157]
	v_fma_f64 v[30:31], v[98:99], s[4:5], v[34:35]
	v_fma_f64 v[34:35], v[98:99], s[6:7], v[90:91]
	;; [unrolled: 1-line block ×8, first 2 shown]
	v_add_f64 v[2:3], v[24:25], v[2:3]
	v_fma_f64 v[104:105], v[132:133], s[4:5], v[22:23]
	v_fma_f64 v[126:127], v[150:151], s[6:7], v[20:21]
	;; [unrolled: 1-line block ×8, first 2 shown]
	v_add_f64 v[76:77], v[76:77], v[6:7]
	v_add_f64 v[6:7], v[12:13], v[8:9]
	;; [unrolled: 1-line block ×3, first 2 shown]
	v_fma_f64 v[74:75], v[166:167], s[4:5], v[82:83]
	v_add_f64 v[10:11], v[72:73], v[48:49]
	v_fma_f64 v[72:73], v[207:208], s[6:7], v[80:81]
	v_fma_f64 v[82:83], v[164:165], s[4:5], v[177:178]
	;; [unrolled: 1-line block ×7, first 2 shown]
	v_add_f64 v[66:67], v[223:224], v[225:226]
	v_add_f64 v[173:174], v[239:240], v[241:242]
	;; [unrolled: 1-line block ×3, first 2 shown]
	v_fma_f64 v[68:69], v[221:222], s[4:5], v[78:79]
	v_fma_f64 v[78:79], v[221:222], s[6:7], v[52:53]
	;; [unrolled: 1-line block ×3, first 2 shown]
	v_add_f64 v[162:163], v[229:230], v[231:232]
	v_fma_f64 v[148:149], v[219:220], s[4:5], v[199:200]
	v_fma_f64 v[164:165], v[50:51], s[6:7], v[203:204]
	;; [unrolled: 1-line block ×10, first 2 shown]
	v_add_f64 v[16:17], v[64:65], v[92:93]
	v_fma_f64 v[92:93], v[253:254], s[6:7], v[70:71]
	v_fma_f64 v[171:172], v[251:252], s[6:7], v[32:33]
	;; [unrolled: 1-line block ×10, first 2 shown]
	v_add_f64 v[4:5], v[18:19], v[14:15]
	v_add_f64 v[18:19], v[26:27], v[88:89]
	v_fma_f64 v[26:27], v[118:119], s[2:3], v[96:97]
	ds_write_b128 v195, v[0:3]
	v_fma_f64 v[0:1], v[134:135], s[2:3], v[104:105]
	v_fma_f64 v[2:3], v[144:145], s[2:3], v[126:127]
	;; [unrolled: 1-line block ×12, first 2 shown]
	v_add_f64 v[14:15], v[76:77], v[60:61]
	v_fma_f64 v[60:61], v[152:153], s[2:3], v[136:137]
	v_fma_f64 v[62:63], v[160:161], s[2:3], v[142:143]
	;; [unrolled: 1-line block ×20, first 2 shown]
	ds_write_b128 v195, v[20:23] offset:7200
	ds_write_b128 v195, v[28:31] offset:14400
	;; [unrolled: 1-line block ×4, first 2 shown]
	ds_write_b128 v170, v[4:7]
	ds_write_b128 v170, v[0:3] offset:7200
	ds_write_b128 v170, v[40:43] offset:14400
	;; [unrolled: 1-line block ×4, first 2 shown]
	ds_write_b128 v196, v[8:11]
	ds_write_b128 v196, v[48:51] offset:7200
	ds_write_b128 v196, v[56:59] offset:14400
	;; [unrolled: 1-line block ×14, first 2 shown]
	s_waitcnt lgkmcnt(0)
	s_barrier
	buffer_gl0_inv
	ds_read_b128 v[4:7], v195
	v_lshlrev_b32_e32 v0, 4, v180
	s_add_u32 s2, s8, 0x8c00
	s_addc_u32 s3, s9, 0
	s_mov_b32 s4, exec_lo
                                        ; implicit-def: $vgpr2_vgpr3
                                        ; implicit-def: $vgpr8_vgpr9
	v_sub_nc_u32_e32 v10, 0, v0
	v_cmpx_ne_u32_e32 0, v180
	s_xor_b32 s4, exec_lo, s4
	s_cbranch_execz .LBB0_25
; %bb.24:
	v_mov_b32_e32 v181, 0
	v_lshlrev_b64 v[0:1], 4, v[180:181]
	v_add_co_u32 v0, s1, s2, v0
	v_add_co_ci_u32_e64 v1, s1, s3, v1, s1
	global_load_dwordx4 v[11:14], v[0:1], off
	ds_read_b128 v[0:3], v10 offset:36000
	s_waitcnt lgkmcnt(0)
	v_add_f64 v[8:9], v[4:5], -v[0:1]
	v_add_f64 v[15:16], v[6:7], v[2:3]
	v_add_f64 v[2:3], v[6:7], -v[2:3]
	v_add_f64 v[0:1], v[4:5], v[0:1]
	v_mul_f64 v[6:7], v[8:9], 0.5
	v_mul_f64 v[4:5], v[15:16], 0.5
	;; [unrolled: 1-line block ×3, first 2 shown]
	s_waitcnt vmcnt(0)
	v_mul_f64 v[8:9], v[6:7], v[13:14]
	v_fma_f64 v[15:16], v[4:5], v[13:14], v[2:3]
	v_fma_f64 v[2:3], v[4:5], v[13:14], -v[2:3]
	v_fma_f64 v[17:18], v[0:1], 0.5, v[8:9]
	v_fma_f64 v[0:1], v[0:1], 0.5, -v[8:9]
	v_fma_f64 v[8:9], -v[11:12], v[6:7], v[15:16]
	v_fma_f64 v[2:3], -v[11:12], v[6:7], v[2:3]
	v_fma_f64 v[13:14], v[4:5], v[11:12], v[17:18]
	v_fma_f64 v[0:1], -v[4:5], v[11:12], v[0:1]
                                        ; implicit-def: $vgpr4_vgpr5
	ds_write_b64 v195, v[13:14]
.LBB0_25:
	s_andn2_saveexec_b32 s1, s4
	s_cbranch_execz .LBB0_27
; %bb.26:
	v_mov_b32_e32 v15, 0
	s_waitcnt lgkmcnt(0)
	v_add_f64 v[13:14], v[4:5], v[6:7]
	v_add_f64 v[0:1], v[4:5], -v[6:7]
	v_mov_b32_e32 v8, 0
	v_mov_b32_e32 v9, 0
	ds_read_b64 v[11:12], v15 offset:18008
	v_mov_b32_e32 v2, v8
	v_mov_b32_e32 v3, v9
	s_waitcnt lgkmcnt(0)
	v_xor_b32_e32 v12, 0x80000000, v12
	ds_write_b64 v195, v[13:14]
	ds_write_b64 v15, v[11:12] offset:18008
.LBB0_27:
	s_or_b32 exec_lo, exec_lo, s1
	v_mov_b32_e32 v185, 0
	ds_write_b64 v195, v[8:9] offset:8
	ds_write_b128 v10, v[0:3] offset:36000
	s_waitcnt lgkmcnt(2)
	v_lshlrev_b64 v[4:5], 4, v[184:185]
	v_mov_b32_e32 v187, v185
	v_mov_b32_e32 v194, v185
	v_add_nc_u32_e32 v184, 0x32a, v180
	v_lshlrev_b64 v[11:12], 4, v[186:187]
	v_add_co_u32 v4, s1, s2, v4
	v_add_co_ci_u32_e64 v5, s1, s3, v5, s1
	v_lshlrev_b64 v[8:9], 4, v[193:194]
	v_add_co_u32 v11, s1, s2, v11
	global_load_dwordx4 v[4:7], v[4:5], off
	v_add_co_ci_u32_e64 v12, s1, s3, v12, s1
	v_add_co_u32 v8, s1, s2, v8
	v_add_co_ci_u32_e64 v9, s1, s3, v9, s1
	global_load_dwordx4 v[11:14], v[11:12], off
	ds_read_b128 v[0:3], v170
	ds_read_b128 v[15:18], v10 offset:34560
	v_mov_b32_e32 v193, v185
	global_load_dwordx4 v[19:22], v[8:9], off
	s_waitcnt lgkmcnt(0)
	v_add_f64 v[8:9], v[0:1], -v[15:16]
	v_add_f64 v[23:24], v[2:3], v[17:18]
	v_add_f64 v[2:3], v[2:3], -v[17:18]
	v_add_f64 v[0:1], v[0:1], v[15:16]
	v_mul_f64 v[8:9], v[8:9], 0.5
	v_mul_f64 v[17:18], v[23:24], 0.5
	;; [unrolled: 1-line block ×3, first 2 shown]
	s_waitcnt vmcnt(2)
	v_mul_f64 v[15:16], v[8:9], v[6:7]
	v_fma_f64 v[23:24], v[17:18], v[6:7], v[2:3]
	v_fma_f64 v[6:7], v[17:18], v[6:7], -v[2:3]
	v_fma_f64 v[25:26], v[0:1], 0.5, v[15:16]
	v_fma_f64 v[15:16], v[0:1], 0.5, -v[15:16]
	v_fma_f64 v[2:3], -v[4:5], v[8:9], v[23:24]
	v_fma_f64 v[6:7], -v[4:5], v[8:9], v[6:7]
	v_lshlrev_b64 v[8:9], 4, v[192:193]
	v_mov_b32_e32 v192, v185
	v_add_co_u32 v8, s1, s2, v8
	v_add_co_ci_u32_e64 v9, s1, s3, v9, s1
	v_fma_f64 v[0:1], v[17:18], v[4:5], v[25:26]
	v_fma_f64 v[4:5], -v[17:18], v[4:5], v[15:16]
	ds_write_b128 v170, v[0:3]
	ds_write_b128 v10, v[4:7] offset:34560
	ds_read_b128 v[0:3], v196
	ds_read_b128 v[4:7], v10 offset:33120
	global_load_dwordx4 v[15:18], v[8:9], off
	s_waitcnt lgkmcnt(0)
	v_add_f64 v[8:9], v[0:1], -v[4:5]
	v_add_f64 v[23:24], v[2:3], v[6:7]
	v_add_f64 v[2:3], v[2:3], -v[6:7]
	v_add_f64 v[0:1], v[0:1], v[4:5]
	v_mul_f64 v[6:7], v[8:9], 0.5
	v_mul_f64 v[8:9], v[23:24], 0.5
	;; [unrolled: 1-line block ×3, first 2 shown]
	s_waitcnt vmcnt(2)
	v_mul_f64 v[4:5], v[6:7], v[13:14]
	v_fma_f64 v[23:24], v[8:9], v[13:14], v[2:3]
	v_fma_f64 v[13:14], v[8:9], v[13:14], -v[2:3]
	v_fma_f64 v[25:26], v[0:1], 0.5, v[4:5]
	v_fma_f64 v[4:5], v[0:1], 0.5, -v[4:5]
	v_fma_f64 v[2:3], -v[11:12], v[6:7], v[23:24]
	v_fma_f64 v[6:7], -v[11:12], v[6:7], v[13:14]
	v_fma_f64 v[0:1], v[8:9], v[11:12], v[25:26]
	v_fma_f64 v[4:5], -v[8:9], v[11:12], v[4:5]
	v_lshlrev_b64 v[8:9], 4, v[191:192]
	v_mov_b32_e32 v191, v185
	ds_write_b128 v196, v[0:3]
	ds_write_b128 v10, v[4:7] offset:33120
	v_add_co_u32 v8, s1, s2, v8
	ds_read_b128 v[0:3], v195 offset:4320
	ds_read_b128 v[4:7], v10 offset:31680
	v_add_co_ci_u32_e64 v9, s1, s3, v9, s1
	global_load_dwordx4 v[11:14], v[8:9], off
	s_waitcnt lgkmcnt(0)
	v_add_f64 v[8:9], v[0:1], -v[4:5]
	v_add_f64 v[23:24], v[2:3], v[6:7]
	v_add_f64 v[2:3], v[2:3], -v[6:7]
	v_add_f64 v[0:1], v[0:1], v[4:5]
	v_mul_f64 v[6:7], v[8:9], 0.5
	v_mul_f64 v[8:9], v[23:24], 0.5
	;; [unrolled: 1-line block ×3, first 2 shown]
	s_waitcnt vmcnt(2)
	v_mul_f64 v[4:5], v[6:7], v[21:22]
	v_fma_f64 v[23:24], v[8:9], v[21:22], v[2:3]
	v_fma_f64 v[21:22], v[8:9], v[21:22], -v[2:3]
	v_fma_f64 v[25:26], v[0:1], 0.5, v[4:5]
	v_fma_f64 v[4:5], v[0:1], 0.5, -v[4:5]
	v_fma_f64 v[2:3], -v[19:20], v[6:7], v[23:24]
	v_fma_f64 v[6:7], -v[19:20], v[6:7], v[21:22]
	v_fma_f64 v[0:1], v[8:9], v[19:20], v[25:26]
	v_fma_f64 v[4:5], -v[8:9], v[19:20], v[4:5]
	v_lshlrev_b64 v[8:9], 4, v[190:191]
	v_mov_b32_e32 v190, v185
	ds_write_b128 v195, v[0:3] offset:4320
	ds_write_b128 v10, v[4:7] offset:31680
	v_add_co_u32 v8, s1, s2, v8
	ds_read_b128 v[0:3], v195 offset:5760
	ds_read_b128 v[4:7], v10 offset:30240
	v_add_co_ci_u32_e64 v9, s1, s3, v9, s1
	global_load_dwordx4 v[19:22], v[8:9], off
	s_waitcnt lgkmcnt(0)
	v_add_f64 v[8:9], v[0:1], -v[4:5]
	v_add_f64 v[23:24], v[2:3], v[6:7]
	v_add_f64 v[2:3], v[2:3], -v[6:7]
	v_add_f64 v[0:1], v[0:1], v[4:5]
	v_mul_f64 v[6:7], v[8:9], 0.5
	v_mul_f64 v[8:9], v[23:24], 0.5
	;; [unrolled: 1-line block ×3, first 2 shown]
	s_waitcnt vmcnt(2)
	v_mul_f64 v[4:5], v[6:7], v[17:18]
	v_fma_f64 v[23:24], v[8:9], v[17:18], v[2:3]
	v_fma_f64 v[17:18], v[8:9], v[17:18], -v[2:3]
	v_fma_f64 v[25:26], v[0:1], 0.5, v[4:5]
	v_fma_f64 v[4:5], v[0:1], 0.5, -v[4:5]
	v_fma_f64 v[2:3], -v[15:16], v[6:7], v[23:24]
	v_fma_f64 v[6:7], -v[15:16], v[6:7], v[17:18]
	v_fma_f64 v[0:1], v[8:9], v[15:16], v[25:26]
	v_fma_f64 v[4:5], -v[8:9], v[15:16], v[4:5]
	v_lshlrev_b64 v[8:9], 4, v[189:190]
	v_mov_b32_e32 v189, v185
	ds_write_b128 v195, v[0:3] offset:5760
	ds_write_b128 v10, v[4:7] offset:30240
	v_add_co_u32 v8, s1, s2, v8
	ds_read_b128 v[0:3], v195 offset:7200
	ds_read_b128 v[4:7], v10 offset:28800
	v_add_co_ci_u32_e64 v9, s1, s3, v9, s1
	global_load_dwordx4 v[15:18], v[8:9], off
	s_waitcnt lgkmcnt(0)
	v_add_f64 v[8:9], v[0:1], -v[4:5]
	v_add_f64 v[23:24], v[2:3], v[6:7]
	v_add_f64 v[2:3], v[2:3], -v[6:7]
	v_add_f64 v[0:1], v[0:1], v[4:5]
	v_mul_f64 v[6:7], v[8:9], 0.5
	v_mul_f64 v[8:9], v[23:24], 0.5
	;; [unrolled: 1-line block ×3, first 2 shown]
	s_waitcnt vmcnt(2)
	v_mul_f64 v[4:5], v[6:7], v[13:14]
	v_fma_f64 v[23:24], v[8:9], v[13:14], v[2:3]
	v_fma_f64 v[13:14], v[8:9], v[13:14], -v[2:3]
	v_fma_f64 v[25:26], v[0:1], 0.5, v[4:5]
	v_fma_f64 v[4:5], v[0:1], 0.5, -v[4:5]
	v_fma_f64 v[2:3], -v[11:12], v[6:7], v[23:24]
	v_fma_f64 v[6:7], -v[11:12], v[6:7], v[13:14]
	v_fma_f64 v[0:1], v[8:9], v[11:12], v[25:26]
	v_fma_f64 v[4:5], -v[8:9], v[11:12], v[4:5]
	v_lshlrev_b64 v[8:9], 4, v[188:189]
	ds_write_b128 v195, v[0:3] offset:7200
	ds_write_b128 v10, v[4:7] offset:28800
	v_add_co_u32 v8, s1, s2, v8
	ds_read_b128 v[0:3], v195 offset:8640
	ds_read_b128 v[4:7], v10 offset:27360
	v_add_co_ci_u32_e64 v9, s1, s3, v9, s1
	global_load_dwordx4 v[11:14], v[8:9], off
	s_waitcnt lgkmcnt(0)
	v_add_f64 v[8:9], v[0:1], -v[4:5]
	v_add_f64 v[23:24], v[2:3], v[6:7]
	v_add_f64 v[2:3], v[2:3], -v[6:7]
	v_add_f64 v[0:1], v[0:1], v[4:5]
	v_mul_f64 v[6:7], v[8:9], 0.5
	v_mul_f64 v[8:9], v[23:24], 0.5
	;; [unrolled: 1-line block ×3, first 2 shown]
	s_waitcnt vmcnt(2)
	v_mul_f64 v[4:5], v[6:7], v[21:22]
	v_fma_f64 v[23:24], v[8:9], v[21:22], v[2:3]
	v_fma_f64 v[21:22], v[8:9], v[21:22], -v[2:3]
	v_fma_f64 v[25:26], v[0:1], 0.5, v[4:5]
	v_fma_f64 v[4:5], v[0:1], 0.5, -v[4:5]
	v_fma_f64 v[2:3], -v[19:20], v[6:7], v[23:24]
	v_fma_f64 v[6:7], -v[19:20], v[6:7], v[21:22]
	v_fma_f64 v[0:1], v[8:9], v[19:20], v[25:26]
	v_fma_f64 v[4:5], -v[8:9], v[19:20], v[4:5]
	v_lshlrev_b64 v[8:9], 4, v[184:185]
	v_add_nc_u32_e32 v184, 0x384, v180
	ds_write_b128 v195, v[0:3] offset:8640
	ds_write_b128 v10, v[4:7] offset:27360
	v_add_co_u32 v8, s1, s2, v8
	ds_read_b128 v[0:3], v195 offset:10080
	ds_read_b128 v[4:7], v10 offset:25920
	v_add_co_ci_u32_e64 v9, s1, s3, v9, s1
	global_load_dwordx4 v[19:22], v[8:9], off
	s_waitcnt lgkmcnt(0)
	v_add_f64 v[8:9], v[0:1], -v[4:5]
	v_add_f64 v[23:24], v[2:3], v[6:7]
	v_add_f64 v[2:3], v[2:3], -v[6:7]
	v_add_f64 v[0:1], v[0:1], v[4:5]
	v_mul_f64 v[6:7], v[8:9], 0.5
	v_mul_f64 v[8:9], v[23:24], 0.5
	;; [unrolled: 1-line block ×3, first 2 shown]
	s_waitcnt vmcnt(2)
	v_mul_f64 v[4:5], v[6:7], v[17:18]
	v_fma_f64 v[23:24], v[8:9], v[17:18], v[2:3]
	v_fma_f64 v[17:18], v[8:9], v[17:18], -v[2:3]
	v_fma_f64 v[25:26], v[0:1], 0.5, v[4:5]
	v_fma_f64 v[4:5], v[0:1], 0.5, -v[4:5]
	v_fma_f64 v[2:3], -v[15:16], v[6:7], v[23:24]
	v_fma_f64 v[6:7], -v[15:16], v[6:7], v[17:18]
	v_fma_f64 v[0:1], v[8:9], v[15:16], v[25:26]
	v_fma_f64 v[4:5], -v[8:9], v[15:16], v[4:5]
	v_lshlrev_b64 v[8:9], 4, v[184:185]
	v_add_nc_u32_e32 v184, 0x3de, v180
	ds_write_b128 v195, v[0:3] offset:10080
	ds_write_b128 v10, v[4:7] offset:25920
	v_add_co_u32 v8, s1, s2, v8
	ds_read_b128 v[0:3], v195 offset:11520
	ds_read_b128 v[4:7], v10 offset:24480
	v_add_co_ci_u32_e64 v9, s1, s3, v9, s1
	global_load_dwordx4 v[15:18], v[8:9], off
	s_waitcnt lgkmcnt(0)
	v_add_f64 v[8:9], v[0:1], -v[4:5]
	v_add_f64 v[23:24], v[2:3], v[6:7]
	v_add_f64 v[2:3], v[2:3], -v[6:7]
	v_add_f64 v[0:1], v[0:1], v[4:5]
	v_mul_f64 v[6:7], v[8:9], 0.5
	v_mul_f64 v[8:9], v[23:24], 0.5
	;; [unrolled: 1-line block ×3, first 2 shown]
	s_waitcnt vmcnt(2)
	v_mul_f64 v[4:5], v[6:7], v[13:14]
	v_fma_f64 v[23:24], v[8:9], v[13:14], v[2:3]
	v_fma_f64 v[13:14], v[8:9], v[13:14], -v[2:3]
	v_fma_f64 v[25:26], v[0:1], 0.5, v[4:5]
	v_fma_f64 v[4:5], v[0:1], 0.5, -v[4:5]
	v_fma_f64 v[2:3], -v[11:12], v[6:7], v[23:24]
	v_fma_f64 v[6:7], -v[11:12], v[6:7], v[13:14]
	v_fma_f64 v[0:1], v[8:9], v[11:12], v[25:26]
	v_fma_f64 v[4:5], -v[8:9], v[11:12], v[4:5]
	v_lshlrev_b64 v[8:9], 4, v[184:185]
	ds_write_b128 v195, v[0:3] offset:11520
	ds_write_b128 v10, v[4:7] offset:24480
	v_add_co_u32 v8, s1, s2, v8
	ds_read_b128 v[0:3], v195 offset:12960
	ds_read_b128 v[4:7], v10 offset:23040
	v_add_co_ci_u32_e64 v9, s1, s3, v9, s1
	global_load_dwordx4 v[11:14], v[8:9], off
	s_waitcnt lgkmcnt(0)
	v_add_f64 v[8:9], v[0:1], -v[4:5]
	v_add_f64 v[23:24], v[2:3], v[6:7]
	v_add_f64 v[2:3], v[2:3], -v[6:7]
	v_add_f64 v[0:1], v[0:1], v[4:5]
	v_mul_f64 v[6:7], v[8:9], 0.5
	v_mul_f64 v[8:9], v[23:24], 0.5
	;; [unrolled: 1-line block ×3, first 2 shown]
	s_waitcnt vmcnt(2)
	v_mul_f64 v[4:5], v[6:7], v[21:22]
	v_fma_f64 v[23:24], v[8:9], v[21:22], v[2:3]
	v_fma_f64 v[21:22], v[8:9], v[21:22], -v[2:3]
	v_fma_f64 v[25:26], v[0:1], 0.5, v[4:5]
	v_fma_f64 v[4:5], v[0:1], 0.5, -v[4:5]
	v_fma_f64 v[2:3], -v[19:20], v[6:7], v[23:24]
	v_fma_f64 v[6:7], -v[19:20], v[6:7], v[21:22]
	v_fma_f64 v[0:1], v[8:9], v[19:20], v[25:26]
	v_fma_f64 v[4:5], -v[8:9], v[19:20], v[4:5]
	ds_write_b128 v195, v[0:3] offset:12960
	ds_write_b128 v10, v[4:7] offset:23040
	ds_read_b128 v[0:3], v195 offset:14400
	ds_read_b128 v[4:7], v10 offset:21600
	s_waitcnt lgkmcnt(0)
	v_add_f64 v[8:9], v[0:1], -v[4:5]
	v_add_f64 v[19:20], v[2:3], v[6:7]
	v_add_f64 v[2:3], v[2:3], -v[6:7]
	v_add_f64 v[0:1], v[0:1], v[4:5]
	v_mul_f64 v[6:7], v[8:9], 0.5
	v_mul_f64 v[8:9], v[19:20], 0.5
	;; [unrolled: 1-line block ×3, first 2 shown]
	s_waitcnt vmcnt(1)
	v_mul_f64 v[4:5], v[6:7], v[17:18]
	v_fma_f64 v[19:20], v[8:9], v[17:18], v[2:3]
	v_fma_f64 v[17:18], v[8:9], v[17:18], -v[2:3]
	v_fma_f64 v[21:22], v[0:1], 0.5, v[4:5]
	v_fma_f64 v[4:5], v[0:1], 0.5, -v[4:5]
	v_fma_f64 v[2:3], -v[15:16], v[6:7], v[19:20]
	v_fma_f64 v[6:7], -v[15:16], v[6:7], v[17:18]
	v_fma_f64 v[0:1], v[8:9], v[15:16], v[21:22]
	v_fma_f64 v[4:5], -v[8:9], v[15:16], v[4:5]
	ds_write_b128 v195, v[0:3] offset:14400
	ds_write_b128 v10, v[4:7] offset:21600
	ds_read_b128 v[0:3], v195 offset:15840
	ds_read_b128 v[4:7], v10 offset:20160
	s_waitcnt lgkmcnt(0)
	v_add_f64 v[8:9], v[0:1], -v[4:5]
	v_add_f64 v[15:16], v[2:3], v[6:7]
	v_add_f64 v[2:3], v[2:3], -v[6:7]
	v_add_f64 v[0:1], v[0:1], v[4:5]
	v_mul_f64 v[6:7], v[8:9], 0.5
	v_mul_f64 v[8:9], v[15:16], 0.5
	v_mul_f64 v[2:3], v[2:3], 0.5
	s_waitcnt vmcnt(0)
	v_mul_f64 v[4:5], v[6:7], v[13:14]
	v_fma_f64 v[15:16], v[8:9], v[13:14], v[2:3]
	v_fma_f64 v[13:14], v[8:9], v[13:14], -v[2:3]
	v_fma_f64 v[17:18], v[0:1], 0.5, v[4:5]
	v_fma_f64 v[4:5], v[0:1], 0.5, -v[4:5]
	v_fma_f64 v[2:3], -v[11:12], v[6:7], v[15:16]
	v_fma_f64 v[6:7], -v[11:12], v[6:7], v[13:14]
	v_fma_f64 v[0:1], v[8:9], v[11:12], v[17:18]
	v_fma_f64 v[4:5], -v[8:9], v[11:12], v[4:5]
	ds_write_b128 v195, v[0:3] offset:15840
	ds_write_b128 v10, v[4:7] offset:20160
	s_and_saveexec_b32 s1, s0
	s_cbranch_execz .LBB0_29
; %bb.28:
	v_add_nc_u32_e32 v184, 0x438, v180
	v_lshlrev_b64 v[0:1], 4, v[184:185]
	v_add_co_u32 v0, s0, s2, v0
	v_add_co_ci_u32_e64 v1, s0, s3, v1, s0
	global_load_dwordx4 v[0:3], v[0:1], off
	ds_read_b128 v[4:7], v195 offset:17280
	ds_read_b128 v[11:14], v10 offset:18720
	s_waitcnt lgkmcnt(0)
	v_add_f64 v[8:9], v[4:5], -v[11:12]
	v_add_f64 v[15:16], v[6:7], v[13:14]
	v_add_f64 v[6:7], v[6:7], -v[13:14]
	v_add_f64 v[4:5], v[4:5], v[11:12]
	v_mul_f64 v[8:9], v[8:9], 0.5
	v_mul_f64 v[13:14], v[15:16], 0.5
	;; [unrolled: 1-line block ×3, first 2 shown]
	s_waitcnt vmcnt(0)
	v_mul_f64 v[11:12], v[8:9], v[2:3]
	v_fma_f64 v[15:16], v[13:14], v[2:3], v[6:7]
	v_fma_f64 v[2:3], v[13:14], v[2:3], -v[6:7]
	v_fma_f64 v[6:7], v[4:5], 0.5, v[11:12]
	v_fma_f64 v[11:12], v[4:5], 0.5, -v[11:12]
	v_fma_f64 v[4:5], -v[0:1], v[8:9], v[15:16]
	v_fma_f64 v[8:9], -v[0:1], v[8:9], v[2:3]
	v_fma_f64 v[2:3], v[13:14], v[0:1], v[6:7]
	v_fma_f64 v[6:7], -v[13:14], v[0:1], v[11:12]
	ds_write_b128 v195, v[2:5] offset:17280
	ds_write_b128 v10, v[6:9] offset:18720
.LBB0_29:
	s_or_b32 exec_lo, exec_lo, s1
	s_waitcnt lgkmcnt(0)
	s_barrier
	buffer_gl0_inv
	s_and_saveexec_b32 s0, vcc_lo
	s_cbranch_execz .LBB0_32
; %bb.30:
	ds_read_b128 v[2:5], v195
	s_clause 0x1
	buffer_load_dword v0, off, s[24:27], 0
	buffer_load_dword v1, off, s[24:27], 0 offset:4
	v_mov_b32_e32 v181, 0
	ds_read_b128 v[6:9], v195 offset:1440
	ds_read_b128 v[10:13], v195 offset:2880
	;; [unrolled: 1-line block ×5, first 2 shown]
	v_lshlrev_b64 v[26:27], 4, v[180:181]
	s_waitcnt vmcnt(1)
	v_add_co_u32 v0, vcc_lo, s12, v0
	s_waitcnt vmcnt(0)
	v_add_co_ci_u32_e32 v1, vcc_lo, s13, v1, vcc_lo
	v_add_co_u32 v30, vcc_lo, v0, v26
	v_add_co_ci_u32_e32 v31, vcc_lo, v1, v27, vcc_lo
	v_add_co_u32 v26, vcc_lo, 0x800, v30
	v_add_co_ci_u32_e32 v27, vcc_lo, 0, v31, vcc_lo
	s_waitcnt lgkmcnt(5)
	global_store_dwordx4 v[30:31], v[2:5], off
	v_add_co_u32 v2, vcc_lo, 0x1000, v30
	v_add_co_ci_u32_e32 v3, vcc_lo, 0, v31, vcc_lo
	v_add_co_u32 v4, vcc_lo, 0x1800, v30
	v_add_co_ci_u32_e32 v5, vcc_lo, 0, v31, vcc_lo
	s_waitcnt lgkmcnt(4)
	global_store_dwordx4 v[30:31], v[6:9], off offset:1440
	s_waitcnt lgkmcnt(3)
	global_store_dwordx4 v[26:27], v[10:13], off offset:832
	;; [unrolled: 2-line block ×5, first 2 shown]
	ds_read_b128 v[2:5], v195 offset:8640
	ds_read_b128 v[6:9], v195 offset:10080
	;; [unrolled: 1-line block ×6, first 2 shown]
	v_add_co_u32 v32, vcc_lo, 0x2000, v30
	ds_read_b128 v[26:29], v195 offset:17280
	v_add_co_ci_u32_e32 v33, vcc_lo, 0, v31, vcc_lo
	v_add_co_u32 v34, vcc_lo, 0x2800, v30
	v_add_co_ci_u32_e32 v35, vcc_lo, 0, v31, vcc_lo
	v_add_co_u32 v36, vcc_lo, 0x3000, v30
	;; [unrolled: 2-line block ×3, first 2 shown]
	v_add_co_ci_u32_e32 v39, vcc_lo, 0, v31, vcc_lo
	s_waitcnt lgkmcnt(6)
	global_store_dwordx4 v[32:33], v[2:5], off offset:448
	s_waitcnt lgkmcnt(5)
	global_store_dwordx4 v[32:33], v[6:9], off offset:1888
	s_waitcnt lgkmcnt(4)
	global_store_dwordx4 v[34:35], v[10:13], off offset:1280
	s_waitcnt lgkmcnt(3)
	global_store_dwordx4 v[36:37], v[14:17], off offset:672
	s_waitcnt lgkmcnt(2)
	global_store_dwordx4 v[38:39], v[18:21], off offset:64
	s_waitcnt lgkmcnt(1)
	global_store_dwordx4 v[38:39], v[22:25], off offset:1504
	ds_read_b128 v[2:5], v195 offset:18720
	ds_read_b128 v[6:9], v195 offset:20160
	;; [unrolled: 1-line block ×5, first 2 shown]
	v_add_co_u32 v22, vcc_lo, 0x4000, v30
	v_add_co_ci_u32_e32 v23, vcc_lo, 0, v31, vcc_lo
	v_add_co_u32 v32, vcc_lo, 0x4800, v30
	v_add_co_ci_u32_e32 v33, vcc_lo, 0, v31, vcc_lo
	s_waitcnt lgkmcnt(5)
	global_store_dwordx4 v[22:23], v[26:29], off offset:896
	ds_read_b128 v[22:25], v195 offset:25920
	ds_read_b128 v[26:29], v195 offset:27360
	v_add_co_u32 v34, vcc_lo, 0x5000, v30
	v_add_co_ci_u32_e32 v35, vcc_lo, 0, v31, vcc_lo
	v_add_co_u32 v36, vcc_lo, 0x5800, v30
	v_add_co_ci_u32_e32 v37, vcc_lo, 0, v31, vcc_lo
	s_waitcnt lgkmcnt(6)
	global_store_dwordx4 v[32:33], v[2:5], off offset:288
	s_waitcnt lgkmcnt(5)
	global_store_dwordx4 v[32:33], v[6:9], off offset:1728
	;; [unrolled: 2-line block ×5, first 2 shown]
	v_add_co_u32 v32, vcc_lo, 0x6000, v30
	v_add_co_ci_u32_e32 v33, vcc_lo, 0, v31, vcc_lo
	ds_read_b128 v[2:5], v195 offset:28800
	v_add_co_u32 v34, vcc_lo, 0x6800, v30
	ds_read_b128 v[6:9], v195 offset:30240
	ds_read_b128 v[10:13], v195 offset:31680
	;; [unrolled: 1-line block ×4, first 2 shown]
	v_add_co_ci_u32_e32 v35, vcc_lo, 0, v31, vcc_lo
	s_waitcnt lgkmcnt(6)
	global_store_dwordx4 v[32:33], v[22:25], off offset:1344
	s_waitcnt lgkmcnt(5)
	global_store_dwordx4 v[34:35], v[26:29], off offset:736
	v_add_co_u32 v22, vcc_lo, 0x7000, v30
	v_add_co_ci_u32_e32 v23, vcc_lo, 0, v31, vcc_lo
	v_add_co_u32 v24, vcc_lo, 0x7800, v30
	v_add_co_ci_u32_e32 v25, vcc_lo, 0, v31, vcc_lo
	;; [unrolled: 2-line block ×3, first 2 shown]
	v_cmp_eq_u32_e32 vcc_lo, 0x59, v180
	s_waitcnt lgkmcnt(4)
	global_store_dwordx4 v[22:23], v[2:5], off offset:128
	s_waitcnt lgkmcnt(3)
	global_store_dwordx4 v[22:23], v[6:9], off offset:1568
	;; [unrolled: 2-line block ×5, first 2 shown]
	s_and_b32 exec_lo, exec_lo, vcc_lo
	s_cbranch_execz .LBB0_32
; %bb.31:
	ds_read_b128 v[2:5], v181 offset:36000
	v_add_co_u32 v0, vcc_lo, 0x8800, v0
	v_add_co_ci_u32_e32 v1, vcc_lo, 0, v1, vcc_lo
	s_waitcnt lgkmcnt(0)
	global_store_dwordx4 v[0:1], v[2:5], off offset:1184
.LBB0_32:
	s_endpgm
	.section	.rodata,"a",@progbits
	.p2align	6, 0x0
	.amdhsa_kernel fft_rtc_fwd_len2250_factors_10_3_5_3_5_wgs_90_tpt_90_halfLds_dp_ip_CI_unitstride_sbrr_R2C_dirReg
		.amdhsa_group_segment_fixed_size 0
		.amdhsa_private_segment_fixed_size 12
		.amdhsa_kernarg_size 88
		.amdhsa_user_sgpr_count 6
		.amdhsa_user_sgpr_private_segment_buffer 1
		.amdhsa_user_sgpr_dispatch_ptr 0
		.amdhsa_user_sgpr_queue_ptr 0
		.amdhsa_user_sgpr_kernarg_segment_ptr 1
		.amdhsa_user_sgpr_dispatch_id 0
		.amdhsa_user_sgpr_flat_scratch_init 0
		.amdhsa_user_sgpr_private_segment_size 0
		.amdhsa_wavefront_size32 1
		.amdhsa_uses_dynamic_stack 0
		.amdhsa_system_sgpr_private_segment_wavefront_offset 1
		.amdhsa_system_sgpr_workgroup_id_x 1
		.amdhsa_system_sgpr_workgroup_id_y 0
		.amdhsa_system_sgpr_workgroup_id_z 0
		.amdhsa_system_sgpr_workgroup_info 0
		.amdhsa_system_vgpr_workitem_id 0
		.amdhsa_next_free_vgpr 255
		.amdhsa_next_free_sgpr 28
		.amdhsa_reserve_vcc 1
		.amdhsa_reserve_flat_scratch 0
		.amdhsa_float_round_mode_32 0
		.amdhsa_float_round_mode_16_64 0
		.amdhsa_float_denorm_mode_32 3
		.amdhsa_float_denorm_mode_16_64 3
		.amdhsa_dx10_clamp 1
		.amdhsa_ieee_mode 1
		.amdhsa_fp16_overflow 0
		.amdhsa_workgroup_processor_mode 1
		.amdhsa_memory_ordered 1
		.amdhsa_forward_progress 0
		.amdhsa_shared_vgpr_count 0
		.amdhsa_exception_fp_ieee_invalid_op 0
		.amdhsa_exception_fp_denorm_src 0
		.amdhsa_exception_fp_ieee_div_zero 0
		.amdhsa_exception_fp_ieee_overflow 0
		.amdhsa_exception_fp_ieee_underflow 0
		.amdhsa_exception_fp_ieee_inexact 0
		.amdhsa_exception_int_div_zero 0
	.end_amdhsa_kernel
	.text
.Lfunc_end0:
	.size	fft_rtc_fwd_len2250_factors_10_3_5_3_5_wgs_90_tpt_90_halfLds_dp_ip_CI_unitstride_sbrr_R2C_dirReg, .Lfunc_end0-fft_rtc_fwd_len2250_factors_10_3_5_3_5_wgs_90_tpt_90_halfLds_dp_ip_CI_unitstride_sbrr_R2C_dirReg
                                        ; -- End function
	.section	.AMDGPU.csdata,"",@progbits
; Kernel info:
; codeLenInByte = 24188
; NumSgprs: 30
; NumVgprs: 255
; ScratchSize: 12
; MemoryBound: 0
; FloatMode: 240
; IeeeMode: 1
; LDSByteSize: 0 bytes/workgroup (compile time only)
; SGPRBlocks: 3
; VGPRBlocks: 31
; NumSGPRsForWavesPerEU: 30
; NumVGPRsForWavesPerEU: 255
; Occupancy: 4
; WaveLimiterHint : 1
; COMPUTE_PGM_RSRC2:SCRATCH_EN: 1
; COMPUTE_PGM_RSRC2:USER_SGPR: 6
; COMPUTE_PGM_RSRC2:TRAP_HANDLER: 0
; COMPUTE_PGM_RSRC2:TGID_X_EN: 1
; COMPUTE_PGM_RSRC2:TGID_Y_EN: 0
; COMPUTE_PGM_RSRC2:TGID_Z_EN: 0
; COMPUTE_PGM_RSRC2:TIDIG_COMP_CNT: 0
	.text
	.p2alignl 6, 3214868480
	.fill 48, 4, 3214868480
	.type	__hip_cuid_bcde319a57cace86,@object ; @__hip_cuid_bcde319a57cace86
	.section	.bss,"aw",@nobits
	.globl	__hip_cuid_bcde319a57cace86
__hip_cuid_bcde319a57cace86:
	.byte	0                               ; 0x0
	.size	__hip_cuid_bcde319a57cace86, 1

	.ident	"AMD clang version 19.0.0git (https://github.com/RadeonOpenCompute/llvm-project roc-6.4.0 25133 c7fe45cf4b819c5991fe208aaa96edf142730f1d)"
	.section	".note.GNU-stack","",@progbits
	.addrsig
	.addrsig_sym __hip_cuid_bcde319a57cace86
	.amdgpu_metadata
---
amdhsa.kernels:
  - .args:
      - .actual_access:  read_only
        .address_space:  global
        .offset:         0
        .size:           8
        .value_kind:     global_buffer
      - .offset:         8
        .size:           8
        .value_kind:     by_value
      - .actual_access:  read_only
        .address_space:  global
        .offset:         16
        .size:           8
        .value_kind:     global_buffer
      - .actual_access:  read_only
        .address_space:  global
        .offset:         24
        .size:           8
        .value_kind:     global_buffer
      - .offset:         32
        .size:           8
        .value_kind:     by_value
      - .actual_access:  read_only
        .address_space:  global
        .offset:         40
        .size:           8
        .value_kind:     global_buffer
      - .actual_access:  read_only
        .address_space:  global
        .offset:         48
        .size:           8
        .value_kind:     global_buffer
      - .offset:         56
        .size:           4
        .value_kind:     by_value
      - .actual_access:  read_only
        .address_space:  global
        .offset:         64
        .size:           8
        .value_kind:     global_buffer
      - .actual_access:  read_only
        .address_space:  global
        .offset:         72
        .size:           8
        .value_kind:     global_buffer
      - .address_space:  global
        .offset:         80
        .size:           8
        .value_kind:     global_buffer
    .group_segment_fixed_size: 0
    .kernarg_segment_align: 8
    .kernarg_segment_size: 88
    .language:       OpenCL C
    .language_version:
      - 2
      - 0
    .max_flat_workgroup_size: 90
    .name:           fft_rtc_fwd_len2250_factors_10_3_5_3_5_wgs_90_tpt_90_halfLds_dp_ip_CI_unitstride_sbrr_R2C_dirReg
    .private_segment_fixed_size: 12
    .sgpr_count:     30
    .sgpr_spill_count: 0
    .symbol:         fft_rtc_fwd_len2250_factors_10_3_5_3_5_wgs_90_tpt_90_halfLds_dp_ip_CI_unitstride_sbrr_R2C_dirReg.kd
    .uniform_work_group_size: 1
    .uses_dynamic_stack: false
    .vgpr_count:     255
    .vgpr_spill_count: 2
    .wavefront_size: 32
    .workgroup_processor_mode: 1
amdhsa.target:   amdgcn-amd-amdhsa--gfx1030
amdhsa.version:
  - 1
  - 2
...

	.end_amdgpu_metadata
